;; amdgpu-corpus repo=ROCm/rocFFT kind=compiled arch=gfx1201 opt=O3
	.text
	.amdgcn_target "amdgcn-amd-amdhsa--gfx1201"
	.amdhsa_code_object_version 6
	.protected	fft_rtc_fwd_len1960_factors_4_7_2_7_5_wgs_56_tpt_56_halfLds_dp_op_CI_CI_unitstride_sbrr_C2R_dirReg ; -- Begin function fft_rtc_fwd_len1960_factors_4_7_2_7_5_wgs_56_tpt_56_halfLds_dp_op_CI_CI_unitstride_sbrr_C2R_dirReg
	.globl	fft_rtc_fwd_len1960_factors_4_7_2_7_5_wgs_56_tpt_56_halfLds_dp_op_CI_CI_unitstride_sbrr_C2R_dirReg
	.p2align	8
	.type	fft_rtc_fwd_len1960_factors_4_7_2_7_5_wgs_56_tpt_56_halfLds_dp_op_CI_CI_unitstride_sbrr_C2R_dirReg,@function
fft_rtc_fwd_len1960_factors_4_7_2_7_5_wgs_56_tpt_56_halfLds_dp_op_CI_CI_unitstride_sbrr_C2R_dirReg: ; @fft_rtc_fwd_len1960_factors_4_7_2_7_5_wgs_56_tpt_56_halfLds_dp_op_CI_CI_unitstride_sbrr_C2R_dirReg
; %bb.0:
	s_clause 0x2
	s_load_b128 s[8:11], s[0:1], 0x0
	s_load_b128 s[4:7], s[0:1], 0x58
	;; [unrolled: 1-line block ×3, first 2 shown]
	v_mul_u32_u24_e32 v1, 0x493, v0
	v_mov_b32_e32 v3, 0
	s_delay_alu instid0(VALU_DEP_2) | instskip(NEXT) | instid1(VALU_DEP_1)
	v_lshrrev_b32_e32 v1, 16, v1
	v_add_nc_u32_e32 v5, ttmp9, v1
	v_mov_b32_e32 v1, 0
	v_mov_b32_e32 v2, 0
	;; [unrolled: 1-line block ×3, first 2 shown]
	s_wait_kmcnt 0x0
	v_cmp_lt_u64_e64 s2, s[10:11], 2
	s_delay_alu instid0(VALU_DEP_1)
	s_and_b32 vcc_lo, exec_lo, s2
	s_cbranch_vccnz .LBB0_8
; %bb.1:
	s_load_b64 s[2:3], s[0:1], 0x10
	v_mov_b32_e32 v1, 0
	v_mov_b32_e32 v2, 0
	s_add_nc_u64 s[16:17], s[14:15], 8
	s_add_nc_u64 s[18:19], s[12:13], 8
	s_mov_b64 s[20:21], 1
	s_delay_alu instid0(VALU_DEP_1)
	v_dual_mov_b32 v171, v2 :: v_dual_mov_b32 v170, v1
	s_wait_kmcnt 0x0
	s_add_nc_u64 s[22:23], s[2:3], 8
	s_mov_b32 s3, 0
.LBB0_2:                                ; =>This Inner Loop Header: Depth=1
	s_load_b64 s[24:25], s[22:23], 0x0
                                        ; implicit-def: $vgpr7_vgpr8
                                        ; kill: killed $vgpr7_vgpr8
	s_mov_b32 s2, exec_lo
	s_wait_kmcnt 0x0
	v_or_b32_e32 v4, s25, v6
	s_delay_alu instid0(VALU_DEP_1)
	v_cmpx_ne_u64_e32 0, v[3:4]
	s_wait_alu 0xfffe
	s_xor_b32 s26, exec_lo, s2
	s_cbranch_execz .LBB0_4
; %bb.3:                                ;   in Loop: Header=BB0_2 Depth=1
	s_cvt_f32_u32 s2, s24
	s_cvt_f32_u32 s27, s25
	s_sub_nc_u64 s[30:31], 0, s[24:25]
	s_wait_alu 0xfffe
	s_delay_alu instid0(SALU_CYCLE_1) | instskip(SKIP_1) | instid1(SALU_CYCLE_2)
	s_fmamk_f32 s2, s27, 0x4f800000, s2
	s_wait_alu 0xfffe
	v_s_rcp_f32 s2, s2
	s_delay_alu instid0(TRANS32_DEP_1) | instskip(SKIP_1) | instid1(SALU_CYCLE_2)
	s_mul_f32 s2, s2, 0x5f7ffffc
	s_wait_alu 0xfffe
	s_mul_f32 s27, s2, 0x2f800000
	s_wait_alu 0xfffe
	s_delay_alu instid0(SALU_CYCLE_2) | instskip(SKIP_1) | instid1(SALU_CYCLE_2)
	s_trunc_f32 s27, s27
	s_wait_alu 0xfffe
	s_fmamk_f32 s2, s27, 0xcf800000, s2
	s_cvt_u32_f32 s29, s27
	s_wait_alu 0xfffe
	s_delay_alu instid0(SALU_CYCLE_1) | instskip(SKIP_1) | instid1(SALU_CYCLE_2)
	s_cvt_u32_f32 s28, s2
	s_wait_alu 0xfffe
	s_mul_u64 s[34:35], s[30:31], s[28:29]
	s_wait_alu 0xfffe
	s_mul_hi_u32 s37, s28, s35
	s_mul_i32 s36, s28, s35
	s_mul_hi_u32 s2, s28, s34
	s_mul_i32 s33, s29, s34
	s_wait_alu 0xfffe
	s_add_nc_u64 s[36:37], s[2:3], s[36:37]
	s_mul_hi_u32 s27, s29, s34
	s_mul_hi_u32 s38, s29, s35
	s_add_co_u32 s2, s36, s33
	s_wait_alu 0xfffe
	s_add_co_ci_u32 s2, s37, s27
	s_mul_i32 s34, s29, s35
	s_add_co_ci_u32 s35, s38, 0
	s_wait_alu 0xfffe
	s_add_nc_u64 s[34:35], s[2:3], s[34:35]
	s_wait_alu 0xfffe
	v_add_co_u32 v4, s2, s28, s34
	s_delay_alu instid0(VALU_DEP_1) | instskip(SKIP_1) | instid1(VALU_DEP_1)
	s_cmp_lg_u32 s2, 0
	s_add_co_ci_u32 s29, s29, s35
	v_readfirstlane_b32 s28, v4
	s_wait_alu 0xfffe
	s_delay_alu instid0(VALU_DEP_1)
	s_mul_u64 s[30:31], s[30:31], s[28:29]
	s_wait_alu 0xfffe
	s_mul_hi_u32 s35, s28, s31
	s_mul_i32 s34, s28, s31
	s_mul_hi_u32 s2, s28, s30
	s_mul_i32 s33, s29, s30
	s_wait_alu 0xfffe
	s_add_nc_u64 s[34:35], s[2:3], s[34:35]
	s_mul_hi_u32 s27, s29, s30
	s_mul_hi_u32 s28, s29, s31
	s_wait_alu 0xfffe
	s_add_co_u32 s2, s34, s33
	s_add_co_ci_u32 s2, s35, s27
	s_mul_i32 s30, s29, s31
	s_add_co_ci_u32 s31, s28, 0
	s_wait_alu 0xfffe
	s_add_nc_u64 s[30:31], s[2:3], s[30:31]
	s_wait_alu 0xfffe
	v_add_co_u32 v4, s2, v4, s30
	s_delay_alu instid0(VALU_DEP_1) | instskip(SKIP_1) | instid1(VALU_DEP_1)
	s_cmp_lg_u32 s2, 0
	s_add_co_ci_u32 s2, s29, s31
	v_mul_hi_u32 v13, v5, v4
	s_wait_alu 0xfffe
	v_mad_co_u64_u32 v[7:8], null, v5, s2, 0
	v_mad_co_u64_u32 v[9:10], null, v6, v4, 0
	;; [unrolled: 1-line block ×3, first 2 shown]
	s_delay_alu instid0(VALU_DEP_3) | instskip(SKIP_1) | instid1(VALU_DEP_4)
	v_add_co_u32 v4, vcc_lo, v13, v7
	s_wait_alu 0xfffd
	v_add_co_ci_u32_e32 v7, vcc_lo, 0, v8, vcc_lo
	s_delay_alu instid0(VALU_DEP_2) | instskip(SKIP_1) | instid1(VALU_DEP_2)
	v_add_co_u32 v4, vcc_lo, v4, v9
	s_wait_alu 0xfffd
	v_add_co_ci_u32_e32 v4, vcc_lo, v7, v10, vcc_lo
	s_wait_alu 0xfffd
	v_add_co_ci_u32_e32 v7, vcc_lo, 0, v12, vcc_lo
	s_delay_alu instid0(VALU_DEP_2) | instskip(SKIP_1) | instid1(VALU_DEP_2)
	v_add_co_u32 v4, vcc_lo, v4, v11
	s_wait_alu 0xfffd
	v_add_co_ci_u32_e32 v9, vcc_lo, 0, v7, vcc_lo
	s_delay_alu instid0(VALU_DEP_2) | instskip(SKIP_1) | instid1(VALU_DEP_3)
	v_mul_lo_u32 v10, s25, v4
	v_mad_co_u64_u32 v[7:8], null, s24, v4, 0
	v_mul_lo_u32 v11, s24, v9
	s_delay_alu instid0(VALU_DEP_2) | instskip(NEXT) | instid1(VALU_DEP_2)
	v_sub_co_u32 v7, vcc_lo, v5, v7
	v_add3_u32 v8, v8, v11, v10
	s_delay_alu instid0(VALU_DEP_1) | instskip(SKIP_1) | instid1(VALU_DEP_1)
	v_sub_nc_u32_e32 v10, v6, v8
	s_wait_alu 0xfffd
	v_subrev_co_ci_u32_e64 v10, s2, s25, v10, vcc_lo
	v_add_co_u32 v11, s2, v4, 2
	s_wait_alu 0xf1ff
	v_add_co_ci_u32_e64 v12, s2, 0, v9, s2
	v_sub_co_u32 v13, s2, v7, s24
	v_sub_co_ci_u32_e32 v8, vcc_lo, v6, v8, vcc_lo
	s_wait_alu 0xf1ff
	v_subrev_co_ci_u32_e64 v10, s2, 0, v10, s2
	s_delay_alu instid0(VALU_DEP_3) | instskip(NEXT) | instid1(VALU_DEP_3)
	v_cmp_le_u32_e32 vcc_lo, s24, v13
	v_cmp_eq_u32_e64 s2, s25, v8
	s_wait_alu 0xfffd
	v_cndmask_b32_e64 v13, 0, -1, vcc_lo
	v_cmp_le_u32_e32 vcc_lo, s25, v10
	s_wait_alu 0xfffd
	v_cndmask_b32_e64 v14, 0, -1, vcc_lo
	v_cmp_le_u32_e32 vcc_lo, s24, v7
	;; [unrolled: 3-line block ×3, first 2 shown]
	s_wait_alu 0xfffd
	v_cndmask_b32_e64 v15, 0, -1, vcc_lo
	v_cmp_eq_u32_e32 vcc_lo, s25, v10
	s_wait_alu 0xf1ff
	s_delay_alu instid0(VALU_DEP_2)
	v_cndmask_b32_e64 v7, v15, v7, s2
	s_wait_alu 0xfffd
	v_cndmask_b32_e32 v10, v14, v13, vcc_lo
	v_add_co_u32 v13, vcc_lo, v4, 1
	s_wait_alu 0xfffd
	v_add_co_ci_u32_e32 v14, vcc_lo, 0, v9, vcc_lo
	s_delay_alu instid0(VALU_DEP_3) | instskip(SKIP_2) | instid1(VALU_DEP_3)
	v_cmp_ne_u32_e32 vcc_lo, 0, v10
	s_wait_alu 0xfffd
	v_cndmask_b32_e32 v10, v13, v11, vcc_lo
	v_cndmask_b32_e32 v8, v14, v12, vcc_lo
	v_cmp_ne_u32_e32 vcc_lo, 0, v7
	s_wait_alu 0xfffd
	s_delay_alu instid0(VALU_DEP_2)
	v_dual_cndmask_b32 v7, v4, v10 :: v_dual_cndmask_b32 v8, v9, v8
	scratch_store_b64 off, v[7:8], off      ; 8-byte Folded Spill
.LBB0_4:                                ;   in Loop: Header=BB0_2 Depth=1
	s_wait_alu 0xfffe
	s_and_not1_saveexec_b32 s2, s26
	s_cbranch_execz .LBB0_6
; %bb.5:                                ;   in Loop: Header=BB0_2 Depth=1
	v_cvt_f32_u32_e32 v4, s24
	s_sub_co_i32 s26, 0, s24
	s_delay_alu instid0(VALU_DEP_1) | instskip(NEXT) | instid1(TRANS32_DEP_1)
	v_rcp_iflag_f32_e32 v4, v4
	v_mul_f32_e32 v4, 0x4f7ffffe, v4
	s_delay_alu instid0(VALU_DEP_1) | instskip(SKIP_1) | instid1(VALU_DEP_1)
	v_cvt_u32_f32_e32 v4, v4
	s_wait_alu 0xfffe
	v_mul_lo_u32 v7, s26, v4
	s_delay_alu instid0(VALU_DEP_1) | instskip(NEXT) | instid1(VALU_DEP_1)
	v_mul_hi_u32 v7, v4, v7
	v_add_nc_u32_e32 v4, v4, v7
	s_delay_alu instid0(VALU_DEP_1) | instskip(NEXT) | instid1(VALU_DEP_1)
	v_mul_hi_u32 v4, v5, v4
	v_mul_lo_u32 v7, v4, s24
	v_add_nc_u32_e32 v8, 1, v4
	s_delay_alu instid0(VALU_DEP_2) | instskip(NEXT) | instid1(VALU_DEP_1)
	v_sub_nc_u32_e32 v7, v5, v7
	v_subrev_nc_u32_e32 v9, s24, v7
	v_cmp_le_u32_e32 vcc_lo, s24, v7
	s_wait_alu 0xfffd
	s_delay_alu instid0(VALU_DEP_2) | instskip(NEXT) | instid1(VALU_DEP_1)
	v_dual_cndmask_b32 v7, v7, v9 :: v_dual_cndmask_b32 v4, v4, v8
	v_cmp_le_u32_e32 vcc_lo, s24, v7
	s_delay_alu instid0(VALU_DEP_2) | instskip(SKIP_1) | instid1(VALU_DEP_1)
	v_add_nc_u32_e32 v8, 1, v4
	s_wait_alu 0xfffd
	v_dual_cndmask_b32 v7, v4, v8 :: v_dual_mov_b32 v8, v3
	scratch_store_b64 off, v[7:8], off      ; 8-byte Folded Spill
.LBB0_6:                                ;   in Loop: Header=BB0_2 Depth=1
	s_wait_alu 0xfffe
	s_or_b32 exec_lo, exec_lo, s2
	scratch_load_b64 v[10:11], off, off     ; 8-byte Folded Reload
	s_load_b64 s[26:27], s[18:19], 0x0
	s_add_nc_u64 s[20:21], s[20:21], 1
	s_add_nc_u64 s[18:19], s[18:19], 8
	s_wait_alu 0xfffe
	v_cmp_ge_u64_e64 s2, s[20:21], s[10:11]
	s_add_nc_u64 s[22:23], s[22:23], 8
	s_wait_loadcnt 0x0
	v_mul_lo_u32 v4, v11, s24
	v_mul_lo_u32 v9, v10, s25
	v_mad_co_u64_u32 v[7:8], null, v10, s24, 0
	s_load_b64 s[24:25], s[16:17], 0x0
	s_add_nc_u64 s[16:17], s[16:17], 8
	s_delay_alu instid0(VALU_DEP_1) | instskip(NEXT) | instid1(VALU_DEP_2)
	v_add3_u32 v4, v8, v9, v4
	v_sub_co_u32 v5, vcc_lo, v5, v7
	s_wait_alu 0xfffd
	s_delay_alu instid0(VALU_DEP_2) | instskip(SKIP_1) | instid1(VALU_DEP_2)
	v_sub_co_ci_u32_e32 v4, vcc_lo, v6, v4, vcc_lo
	s_wait_kmcnt 0x0
	v_mul_lo_u32 v7, s27, v5
	v_mad_co_u64_u32 v[1:2], null, s26, v5, v[1:2]
	s_delay_alu instid0(VALU_DEP_3) | instskip(SKIP_4) | instid1(VALU_DEP_4)
	v_mul_lo_u32 v6, s26, v4
	s_and_b32 vcc_lo, exec_lo, s2
	v_mul_lo_u32 v4, s24, v4
	v_mul_lo_u32 v8, s25, v5
	v_mad_co_u64_u32 v[170:171], null, s24, v5, v[170:171]
	v_add3_u32 v2, v7, v2, v6
	s_delay_alu instid0(VALU_DEP_2)
	v_add3_u32 v171, v8, v171, v4
	s_wait_alu 0xfffe
	s_cbranch_vccnz .LBB0_9
; %bb.7:                                ;   in Loop: Header=BB0_2 Depth=1
	v_dual_mov_b32 v5, v10 :: v_dual_mov_b32 v6, v11
	s_branch .LBB0_2
.LBB0_8:
	v_dual_mov_b32 v171, v2 :: v_dual_mov_b32 v170, v1
	scratch_store_b64 off, v[5:6], off      ; 8-byte Folded Spill
.LBB0_9:
	scratch_load_b64 v[4:5], off, off       ; 8-byte Folded Reload
	s_load_b64 s[0:1], s[0:1], 0x28
	v_mul_hi_u32 v3, 0x4924925, v0
	s_lshl_b64 s[10:11], s[10:11], 3
                                        ; implicit-def: $vgpr168
	s_wait_alu 0xfffe
	s_add_nc_u64 s[2:3], s[14:15], s[10:11]
	s_wait_loadcnt 0x0
	s_wait_kmcnt 0x0
	v_cmp_gt_u64_e32 vcc_lo, s[0:1], v[4:5]
	v_cmp_le_u64_e64 s0, s[0:1], v[4:5]
	s_delay_alu instid0(VALU_DEP_1)
	s_and_saveexec_b32 s1, s0
	s_wait_alu 0xfffe
	s_xor_b32 s0, exec_lo, s1
; %bb.10:
	v_mul_u32_u24_e32 v1, 56, v3
                                        ; implicit-def: $vgpr3
	s_delay_alu instid0(VALU_DEP_1)
	v_sub_nc_u32_e32 v168, v0, v1
                                        ; implicit-def: $vgpr0
                                        ; implicit-def: $vgpr1_vgpr2
; %bb.11:
	s_wait_alu 0xfffe
	s_or_saveexec_b32 s1, s0
	s_load_b64 s[2:3], s[2:3], 0x0
	s_xor_b32 exec_lo, exec_lo, s1
	s_cbranch_execz .LBB0_15
; %bb.12:
	scratch_load_b64 v[4:5], off, off       ; 8-byte Folded Reload
	s_add_nc_u64 s[10:11], s[12:13], s[10:11]
	v_lshlrev_b64_e32 v[1:2], 4, v[1:2]
	s_load_b64 s[10:11], s[10:11], 0x0
	s_wait_loadcnt 0x0
	s_wait_kmcnt 0x0
	v_mul_lo_u32 v6, s11, v4
	v_mul_lo_u32 v7, s10, v5
	v_mad_co_u64_u32 v[4:5], null, s10, v4, 0
	s_delay_alu instid0(VALU_DEP_1) | instskip(SKIP_1) | instid1(VALU_DEP_2)
	v_add3_u32 v5, v5, v7, v6
	v_mul_u32_u24_e32 v6, 56, v3
	v_lshlrev_b64_e32 v[3:4], 4, v[4:5]
	s_delay_alu instid0(VALU_DEP_2) | instskip(NEXT) | instid1(VALU_DEP_1)
	v_sub_nc_u32_e32 v168, v0, v6
	v_lshlrev_b32_e32 v142, 4, v168
	s_delay_alu instid0(VALU_DEP_3) | instskip(SKIP_1) | instid1(VALU_DEP_4)
	v_add_co_u32 v0, s0, s4, v3
	s_wait_alu 0xf1ff
	v_add_co_ci_u32_e64 v3, s0, s5, v4, s0
	s_delay_alu instid0(VALU_DEP_2) | instskip(SKIP_1) | instid1(VALU_DEP_2)
	v_add_co_u32 v0, s0, v0, v1
	s_wait_alu 0xf1ff
	v_add_co_ci_u32_e64 v1, s0, v3, v2, s0
	s_delay_alu instid0(VALU_DEP_2) | instskip(SKIP_1) | instid1(VALU_DEP_2)
	v_add_co_u32 v138, s0, v0, v142
	s_wait_alu 0xf1ff
	v_add_co_ci_u32_e64 v139, s0, 0, v1, s0
	s_clause 0x1f
	global_load_b128 v[2:5], v[138:139], off
	global_load_b128 v[6:9], v[138:139], off offset:896
	global_load_b128 v[10:13], v[138:139], off offset:1792
	global_load_b128 v[14:17], v[138:139], off offset:2688
	global_load_b128 v[18:21], v[138:139], off offset:3584
	global_load_b128 v[22:25], v[138:139], off offset:4480
	global_load_b128 v[26:29], v[138:139], off offset:5376
	global_load_b128 v[30:33], v[138:139], off offset:6272
	global_load_b128 v[34:37], v[138:139], off offset:7168
	global_load_b128 v[38:41], v[138:139], off offset:8064
	global_load_b128 v[42:45], v[138:139], off offset:8960
	global_load_b128 v[46:49], v[138:139], off offset:9856
	global_load_b128 v[50:53], v[138:139], off offset:10752
	global_load_b128 v[54:57], v[138:139], off offset:11648
	global_load_b128 v[58:61], v[138:139], off offset:12544
	global_load_b128 v[62:65], v[138:139], off offset:13440
	global_load_b128 v[66:69], v[138:139], off offset:14336
	global_load_b128 v[70:73], v[138:139], off offset:15232
	global_load_b128 v[74:77], v[138:139], off offset:16128
	global_load_b128 v[78:81], v[138:139], off offset:17024
	global_load_b128 v[82:85], v[138:139], off offset:17920
	global_load_b128 v[86:89], v[138:139], off offset:18816
	global_load_b128 v[90:93], v[138:139], off offset:19712
	global_load_b128 v[94:97], v[138:139], off offset:20608
	global_load_b128 v[98:101], v[138:139], off offset:21504
	global_load_b128 v[102:105], v[138:139], off offset:22400
	global_load_b128 v[106:109], v[138:139], off offset:23296
	global_load_b128 v[110:113], v[138:139], off offset:24192
	global_load_b128 v[114:117], v[138:139], off offset:25088
	global_load_b128 v[118:121], v[138:139], off offset:25984
	global_load_b128 v[122:125], v[138:139], off offset:26880
	global_load_b128 v[126:129], v[138:139], off offset:27776
	s_clause 0x2
	global_load_b128 v[130:133], v[138:139], off offset:28672
	global_load_b128 v[134:137], v[138:139], off offset:29568
	;; [unrolled: 1-line block ×3, first 2 shown]
	v_add_nc_u32_e32 v142, 0, v142
	v_cmp_eq_u32_e64 s0, 55, v168
	s_wait_loadcnt 0x22
	ds_store_b128 v142, v[2:5]
	s_wait_loadcnt 0x21
	ds_store_b128 v142, v[6:9] offset:896
	s_wait_loadcnt 0x20
	ds_store_b128 v142, v[10:13] offset:1792
	;; [unrolled: 2-line block ×34, first 2 shown]
	s_and_saveexec_b32 s4, s0
	s_cbranch_execz .LBB0_14
; %bb.13:
	global_load_b128 v[0:3], v[0:1], off offset:31360
	v_mov_b32_e32 v4, 0
	v_mov_b32_e32 v168, 55
	s_wait_loadcnt 0x0
	ds_store_b128 v4, v[0:3] offset:31360
.LBB0_14:
	s_wait_alu 0xfffe
	s_or_b32 exec_lo, exec_lo, s4
.LBB0_15:
	s_delay_alu instid0(SALU_CYCLE_1)
	s_or_b32 exec_lo, exec_lo, s1
	v_lshlrev_b32_e32 v0, 4, v168
	global_wb scope:SCOPE_SE
	s_wait_storecnt_dscnt 0x0
	s_wait_kmcnt 0x0
	s_barrier_signal -1
	s_barrier_wait -1
	global_inv scope:SCOPE_SE
	v_add_nc_u32_e32 v230, 0, v0
	v_sub_nc_u32_e32 v10, 0, v0
	s_mov_b32 s1, exec_lo
                                        ; implicit-def: $vgpr4_vgpr5
	ds_load_b64 v[6:7], v230
	ds_load_b64 v[8:9], v10 offset:31360
	s_wait_dscnt 0x0
	v_add_f64_e32 v[0:1], v[6:7], v[8:9]
	v_add_f64_e64 v[2:3], v[6:7], -v[8:9]
	v_cmpx_ne_u32_e32 0, v168
	s_wait_alu 0xfffe
	s_xor_b32 s1, exec_lo, s1
	s_cbranch_execz .LBB0_17
; %bb.16:
	v_mov_b32_e32 v169, 0
	v_add_f64_e32 v[13:14], v[6:7], v[8:9]
	v_add_f64_e64 v[15:16], v[6:7], -v[8:9]
	s_delay_alu instid0(VALU_DEP_3) | instskip(NEXT) | instid1(VALU_DEP_1)
	v_lshlrev_b64_e32 v[0:1], 4, v[168:169]
	v_add_co_u32 v0, s0, s8, v0
	s_wait_alu 0xf1ff
	s_delay_alu instid0(VALU_DEP_2)
	v_add_co_ci_u32_e64 v1, s0, s9, v1, s0
	global_load_b128 v[2:5], v[0:1], off offset:31296
	ds_load_b64 v[0:1], v10 offset:31368
	ds_load_b64 v[11:12], v230 offset:8
	s_wait_dscnt 0x0
	v_add_f64_e32 v[6:7], v[0:1], v[11:12]
	v_add_f64_e64 v[0:1], v[11:12], -v[0:1]
	s_wait_loadcnt 0x0
	v_fma_f64 v[8:9], v[15:16], v[4:5], v[13:14]
	v_fma_f64 v[11:12], -v[15:16], v[4:5], v[13:14]
	s_delay_alu instid0(VALU_DEP_3) | instskip(SKIP_1) | instid1(VALU_DEP_4)
	v_fma_f64 v[13:14], v[6:7], v[4:5], -v[0:1]
	v_fma_f64 v[4:5], v[6:7], v[4:5], v[0:1]
	v_fma_f64 v[0:1], -v[6:7], v[2:3], v[8:9]
	s_delay_alu instid0(VALU_DEP_4) | instskip(NEXT) | instid1(VALU_DEP_4)
	v_fma_f64 v[6:7], v[6:7], v[2:3], v[11:12]
	v_fma_f64 v[8:9], v[15:16], v[2:3], v[13:14]
	s_delay_alu instid0(VALU_DEP_4)
	v_fma_f64 v[2:3], v[15:16], v[2:3], v[4:5]
	v_dual_mov_b32 v4, v168 :: v_dual_mov_b32 v5, v169
	ds_store_b128 v10, v[6:9] offset:31360
.LBB0_17:
	s_wait_alu 0xfffe
	s_and_not1_saveexec_b32 s0, s1
	s_cbranch_execz .LBB0_19
; %bb.18:
	v_mov_b32_e32 v8, 0
	ds_load_b128 v[4:7], v8 offset:15680
	s_wait_dscnt 0x0
	v_add_f64_e32 v[11:12], v[4:5], v[4:5]
	v_mul_f64_e32 v[13:14], -2.0, v[6:7]
	v_mov_b32_e32 v4, 0
	v_mov_b32_e32 v5, 0
	ds_store_b128 v8, v[11:14] offset:15680
.LBB0_19:
	s_wait_alu 0xfffe
	s_or_b32 exec_lo, exec_lo, s0
	v_lshlrev_b64_e32 v[4:5], 4, v[4:5]
	s_add_nc_u64 s[0:1], s[8:9], 0x7a40
	s_wait_alu 0xfffe
	s_delay_alu instid0(VALU_DEP_1) | instskip(SKIP_1) | instid1(VALU_DEP_2)
	v_add_co_u32 v4, s0, s0, v4
	s_wait_alu 0xf1ff
	v_add_co_ci_u32_e64 v5, s0, s1, v5, s0
	v_cmp_gt_u32_e64 s0, 28, v168
	s_clause 0x1
	global_load_b128 v[6:9], v[4:5], off offset:896
	global_load_b128 v[11:14], v[4:5], off offset:1792
	ds_store_b128 v230, v[0:3]
	ds_load_b128 v[0:3], v230 offset:896
	ds_load_b128 v[15:18], v10 offset:30464
	global_load_b128 v[19:22], v[4:5], off offset:2688
	s_wait_dscnt 0x0
	v_add_f64_e32 v[23:24], v[0:1], v[15:16]
	v_add_f64_e32 v[25:26], v[17:18], v[2:3]
	v_add_f64_e64 v[27:28], v[0:1], -v[15:16]
	v_add_f64_e64 v[0:1], v[2:3], -v[17:18]
	s_wait_loadcnt 0x2
	s_delay_alu instid0(VALU_DEP_2) | instskip(NEXT) | instid1(VALU_DEP_2)
	v_fma_f64 v[2:3], v[27:28], v[8:9], v[23:24]
	v_fma_f64 v[15:16], v[25:26], v[8:9], v[0:1]
	v_fma_f64 v[17:18], -v[27:28], v[8:9], v[23:24]
	v_fma_f64 v[8:9], v[25:26], v[8:9], -v[0:1]
	s_delay_alu instid0(VALU_DEP_4) | instskip(NEXT) | instid1(VALU_DEP_4)
	v_fma_f64 v[0:1], -v[25:26], v[6:7], v[2:3]
	v_fma_f64 v[2:3], v[27:28], v[6:7], v[15:16]
	s_delay_alu instid0(VALU_DEP_4) | instskip(NEXT) | instid1(VALU_DEP_4)
	v_fma_f64 v[15:16], v[25:26], v[6:7], v[17:18]
	v_fma_f64 v[17:18], v[27:28], v[6:7], v[8:9]
	ds_store_b128 v230, v[0:3] offset:896
	ds_store_b128 v10, v[15:18] offset:30464
	ds_load_b128 v[0:3], v230 offset:1792
	ds_load_b128 v[6:9], v10 offset:29568
	global_load_b128 v[15:18], v[4:5], off offset:3584
	s_wait_dscnt 0x0
	v_add_f64_e32 v[23:24], v[0:1], v[6:7]
	v_add_f64_e32 v[25:26], v[8:9], v[2:3]
	v_add_f64_e64 v[27:28], v[0:1], -v[6:7]
	v_add_f64_e64 v[0:1], v[2:3], -v[8:9]
	s_wait_loadcnt 0x2
	s_delay_alu instid0(VALU_DEP_2) | instskip(NEXT) | instid1(VALU_DEP_2)
	v_fma_f64 v[2:3], v[27:28], v[13:14], v[23:24]
	v_fma_f64 v[6:7], v[25:26], v[13:14], v[0:1]
	v_fma_f64 v[8:9], -v[27:28], v[13:14], v[23:24]
	v_fma_f64 v[13:14], v[25:26], v[13:14], -v[0:1]
	s_delay_alu instid0(VALU_DEP_4) | instskip(NEXT) | instid1(VALU_DEP_4)
	v_fma_f64 v[0:1], -v[25:26], v[11:12], v[2:3]
	v_fma_f64 v[2:3], v[27:28], v[11:12], v[6:7]
	s_delay_alu instid0(VALU_DEP_4) | instskip(NEXT) | instid1(VALU_DEP_4)
	v_fma_f64 v[6:7], v[25:26], v[11:12], v[8:9]
	v_fma_f64 v[8:9], v[27:28], v[11:12], v[13:14]
	ds_store_b128 v230, v[0:3] offset:1792
	ds_store_b128 v10, v[6:9] offset:29568
	;; [unrolled: 22-line block ×14, first 2 shown]
	ds_load_b128 v[0:3], v230 offset:13440
	ds_load_b128 v[6:9], v10 offset:17920
	s_wait_dscnt 0x0
	v_add_f64_e32 v[11:12], v[0:1], v[6:7]
	v_add_f64_e32 v[13:14], v[8:9], v[2:3]
	v_add_f64_e64 v[23:24], v[0:1], -v[6:7]
	v_add_f64_e64 v[0:1], v[2:3], -v[8:9]
	s_wait_loadcnt 0x1
	s_delay_alu instid0(VALU_DEP_2) | instskip(NEXT) | instid1(VALU_DEP_2)
	v_fma_f64 v[2:3], v[23:24], v[21:22], v[11:12]
	v_fma_f64 v[6:7], v[13:14], v[21:22], v[0:1]
	v_fma_f64 v[8:9], -v[23:24], v[21:22], v[11:12]
	v_fma_f64 v[11:12], v[13:14], v[21:22], -v[0:1]
	s_delay_alu instid0(VALU_DEP_4) | instskip(NEXT) | instid1(VALU_DEP_4)
	v_fma_f64 v[0:1], -v[13:14], v[19:20], v[2:3]
	v_fma_f64 v[2:3], v[23:24], v[19:20], v[6:7]
	s_delay_alu instid0(VALU_DEP_4) | instskip(NEXT) | instid1(VALU_DEP_4)
	v_fma_f64 v[6:7], v[13:14], v[19:20], v[8:9]
	v_fma_f64 v[8:9], v[23:24], v[19:20], v[11:12]
	ds_store_b128 v230, v[0:3] offset:13440
	ds_store_b128 v10, v[6:9] offset:17920
	ds_load_b128 v[0:3], v230 offset:14336
	ds_load_b128 v[6:9], v10 offset:17024
	s_wait_dscnt 0x0
	v_add_f64_e32 v[11:12], v[0:1], v[6:7]
	v_add_f64_e32 v[13:14], v[8:9], v[2:3]
	v_add_f64_e64 v[19:20], v[0:1], -v[6:7]
	v_add_f64_e64 v[0:1], v[2:3], -v[8:9]
	s_wait_loadcnt 0x0
	s_delay_alu instid0(VALU_DEP_2) | instskip(NEXT) | instid1(VALU_DEP_2)
	v_fma_f64 v[2:3], v[19:20], v[17:18], v[11:12]
	v_fma_f64 v[6:7], v[13:14], v[17:18], v[0:1]
	v_fma_f64 v[8:9], -v[19:20], v[17:18], v[11:12]
	v_fma_f64 v[11:12], v[13:14], v[17:18], -v[0:1]
	s_delay_alu instid0(VALU_DEP_4) | instskip(NEXT) | instid1(VALU_DEP_4)
	v_fma_f64 v[0:1], -v[13:14], v[15:16], v[2:3]
	v_fma_f64 v[2:3], v[19:20], v[15:16], v[6:7]
	s_delay_alu instid0(VALU_DEP_4) | instskip(NEXT) | instid1(VALU_DEP_4)
	v_fma_f64 v[6:7], v[13:14], v[15:16], v[8:9]
	v_fma_f64 v[8:9], v[19:20], v[15:16], v[11:12]
	ds_store_b128 v230, v[0:3] offset:14336
	ds_store_b128 v10, v[6:9] offset:17024
	s_and_saveexec_b32 s1, s0
	s_cbranch_execz .LBB0_21
; %bb.20:
	global_load_b128 v[0:3], v[4:5], off offset:15232
	ds_load_b128 v[4:7], v230 offset:15232
	ds_load_b128 v[11:14], v10 offset:16128
	s_wait_dscnt 0x0
	v_add_f64_e32 v[8:9], v[4:5], v[11:12]
	v_add_f64_e32 v[15:16], v[13:14], v[6:7]
	v_add_f64_e64 v[11:12], v[4:5], -v[11:12]
	v_add_f64_e64 v[4:5], v[6:7], -v[13:14]
	s_wait_loadcnt 0x0
	s_delay_alu instid0(VALU_DEP_2) | instskip(NEXT) | instid1(VALU_DEP_2)
	v_fma_f64 v[6:7], v[11:12], v[2:3], v[8:9]
	v_fma_f64 v[13:14], v[15:16], v[2:3], v[4:5]
	v_fma_f64 v[8:9], -v[11:12], v[2:3], v[8:9]
	v_fma_f64 v[17:18], v[15:16], v[2:3], -v[4:5]
	s_delay_alu instid0(VALU_DEP_4) | instskip(NEXT) | instid1(VALU_DEP_4)
	v_fma_f64 v[2:3], -v[15:16], v[0:1], v[6:7]
	v_fma_f64 v[4:5], v[11:12], v[0:1], v[13:14]
	s_delay_alu instid0(VALU_DEP_4) | instskip(NEXT) | instid1(VALU_DEP_4)
	v_fma_f64 v[6:7], v[15:16], v[0:1], v[8:9]
	v_fma_f64 v[8:9], v[11:12], v[0:1], v[17:18]
	ds_store_b128 v230, v[2:5] offset:15232
	ds_store_b128 v10, v[6:9] offset:16128
.LBB0_21:
	s_wait_alu 0xfffe
	s_or_b32 exec_lo, exec_lo, s1
	global_wb scope:SCOPE_SE
	s_wait_dscnt 0x0
	s_barrier_signal -1
	s_barrier_wait -1
	global_inv scope:SCOPE_SE
	global_wb scope:SCOPE_SE
	s_barrier_signal -1
	s_barrier_wait -1
	global_inv scope:SCOPE_SE
	ds_load_b128 v[24:27], v230 offset:15680
	ds_load_b128 v[8:11], v230
	ds_load_b128 v[0:3], v230 offset:7840
	ds_load_b128 v[28:31], v230 offset:23520
	;; [unrolled: 1-line block ×12, first 2 shown]
	v_add_nc_u32_e32 v176, 56, v168
	v_add_nc_u32_e32 v255, 0x70, v168
	;; [unrolled: 1-line block ×4, first 2 shown]
	s_mov_b32 s4, exec_lo
	s_wait_dscnt 0xc
	v_add_f64_e64 v[24:25], v[8:9], -v[24:25]
	v_add_f64_e64 v[26:27], v[10:11], -v[26:27]
	s_wait_dscnt 0xa
	v_add_f64_e64 v[120:121], v[0:1], -v[28:29]
	v_add_f64_e64 v[122:123], v[2:3], -v[30:31]
	;; [unrolled: 3-line block ×4, first 2 shown]
	ds_load_b128 v[28:31], v230 offset:17472
	ds_load_b128 v[56:59], v230 offset:18368
	;; [unrolled: 1-line block ×19, first 2 shown]
	s_wait_dscnt 0x15
	v_add_f64_e64 v[136:137], v[40:41], -v[44:45]
	v_add_f64_e64 v[138:139], v[42:43], -v[46:47]
	s_wait_dscnt 0xa
	v_add_f64_e64 v[148:149], v[68:69], -v[76:77]
	v_add_f64_e64 v[150:151], v[70:71], -v[78:79]
	s_wait_dscnt 0x9
	v_add_f64_e64 v[152:153], v[72:73], -v[80:81]
	v_add_f64_e64 v[154:155], v[74:75], -v[82:83]
	s_wait_dscnt 0x6
	v_add_f64_e64 v[82:83], v[84:85], -v[92:93]
	v_add_f64_e64 v[80:81], v[86:87], -v[94:95]
	s_wait_dscnt 0x5
	v_add_f64_e64 v[92:93], v[88:89], -v[96:97]
	v_add_f64_e64 v[94:95], v[90:91], -v[98:99]
	v_add_f64_e64 v[132:133], v[48:49], -v[28:29]
	v_add_f64_e64 v[134:135], v[50:51], -v[30:31]
	ds_load_b128 v[28:31], v230 offset:14112
	v_add_f64_e64 v[140:141], v[52:53], -v[56:57]
	v_add_f64_e64 v[142:143], v[54:55], -v[58:59]
	;; [unrolled: 1-line block ×6, first 2 shown]
	s_wait_dscnt 0x3
	v_add_f64_e64 v[156:157], v[100:101], -v[108:109]
	v_add_f64_e64 v[158:159], v[102:103], -v[110:111]
	v_fma_f64 v[144:145], v[8:9], 2.0, -v[24:25]
	v_fma_f64 v[146:147], v[10:11], 2.0, -v[26:27]
	ds_load_b128 v[8:11], v230 offset:15008
	v_fma_f64 v[44:45], v[0:1], 2.0, -v[120:121]
	v_fma_f64 v[46:47], v[2:3], 2.0, -v[122:123]
	;; [unrolled: 1-line block ×6, first 2 shown]
	s_wait_dscnt 0x3
	v_add_f64_e64 v[160:161], v[104:105], -v[112:113]
	v_add_f64_e64 v[162:163], v[106:107], -v[114:115]
	s_wait_dscnt 0x1
	v_add_f64_e64 v[98:99], v[28:29], -v[116:117]
	v_add_f64_e64 v[96:97], v[30:31], -v[118:119]
	ds_load_b128 v[0:3], v230 offset:30688
	global_wb scope:SCOPE_SE
	s_wait_dscnt 0x0
	s_barrier_signal -1
	s_barrier_wait -1
	global_inv scope:SCOPE_SE
	v_fma_f64 v[116:117], v[68:69], 2.0, -v[148:149]
	v_fma_f64 v[118:119], v[70:71], 2.0, -v[150:151]
	;; [unrolled: 1-line block ×16, first 2 shown]
	v_add_f64_e64 v[36:37], v[24:25], -v[122:123]
	v_add_f64_e32 v[38:39], v[26:27], v[120:121]
	v_fma_f64 v[120:121], v[72:73], 2.0, -v[152:153]
	v_fma_f64 v[122:123], v[74:75], 2.0, -v[154:155]
	v_add_f64_e64 v[32:33], v[144:145], -v[44:45]
	v_add_f64_e64 v[34:35], v[146:147], -v[46:47]
	v_fma_f64 v[164:165], v[100:101], 2.0, -v[156:157]
	v_fma_f64 v[166:167], v[102:103], 2.0, -v[158:159]
	v_add_f64_e64 v[40:41], v[4:5], -v[64:65]
	v_add_f64_e64 v[42:43], v[6:7], -v[66:67]
	v_fma_f64 v[177:178], v[104:105], 2.0, -v[160:161]
	v_fma_f64 v[179:180], v[106:107], 2.0, -v[162:163]
	v_fma_f64 v[100:101], v[28:29], 2.0, -v[98:99]
	v_fma_f64 v[102:103], v[30:31], 2.0, -v[96:97]
	v_add_f64_e64 v[28:29], v[124:125], -v[130:131]
	v_add_f64_e32 v[30:31], v[126:127], v[128:129]
	v_add_f64_e64 v[56:57], v[140:141], -v[56:57]
	v_add_f64_e32 v[58:59], v[142:143], v[58:59]
	;; [unrolled: 2-line block ×6, first 2 shown]
	v_lshl_add_u32 v128, v168, 6, 0
	ds_store_b128 v128, v[32:35] offset:32
	ds_store_b128 v128, v[36:39] offset:48
	v_add_f64_e64 v[44:45], v[108:109], -v[48:49]
	v_add_f64_e64 v[46:47], v[110:111], -v[50:51]
	;; [unrolled: 1-line block ×3, first 2 shown]
	v_add_f64_e32 v[50:51], v[134:135], v[136:137]
	v_add_f64_e64 v[52:53], v[112:113], -v[16:17]
	v_add_f64_e64 v[54:55], v[114:115], -v[18:19]
	;; [unrolled: 1-line block ×4, first 2 shown]
	v_fma_f64 v[68:69], v[144:145], 2.0, -v[32:33]
	v_fma_f64 v[70:71], v[146:147], 2.0, -v[34:35]
	v_add_f64_e64 v[76:77], v[120:121], -v[76:77]
	v_add_f64_e64 v[78:79], v[122:123], -v[78:79]
	v_fma_f64 v[24:25], v[24:25], 2.0, -v[36:37]
	v_fma_f64 v[26:27], v[26:27], 2.0, -v[38:39]
	v_fma_f64 v[72:73], v[4:5], 2.0, -v[40:41]
	v_fma_f64 v[74:75], v[6:7], 2.0, -v[42:43]
	v_add_f64_e64 v[84:85], v[164:165], -v[84:85]
	v_add_f64_e64 v[86:87], v[166:167], -v[86:87]
	;; [unrolled: 1-line block ×8, first 2 shown]
	v_fma_f64 v[20:21], v[124:125], 2.0, -v[28:29]
	v_fma_f64 v[22:23], v[126:127], 2.0, -v[30:31]
	;; [unrolled: 1-line block ×4, first 2 shown]
	v_lshl_add_u32 v124, v176, 6, 0
	ds_store_b128 v128, v[68:71]
	ds_store_b128 v128, v[24:27] offset:16
	ds_store_b128 v124, v[40:43] offset:32
	;; [unrolled: 1-line block ×3, first 2 shown]
	v_fma_f64 v[100:101], v[108:109], 2.0, -v[44:45]
	v_fma_f64 v[102:103], v[110:111], 2.0, -v[46:47]
	;; [unrolled: 1-line block ×16, first 2 shown]
	v_add_f64_e64 v[0:1], v[4:5], -v[18:19]
	v_add_f64_e32 v[2:3], v[6:7], v[16:17]
	v_fma_f64 v[68:69], v[156:157], 2.0, -v[88:89]
	v_fma_f64 v[70:71], v[158:159], 2.0, -v[90:91]
	;; [unrolled: 1-line block ×6, first 2 shown]
	v_lshl_add_u32 v125, v255, 6, 0
	ds_store_b128 v124, v[72:75]
	ds_store_b128 v124, v[20:23] offset:16
	v_lshl_add_u32 v20, v229, 6, 0
	ds_store_b128 v125, v[44:47] offset:32
	ds_store_b128 v125, v[48:51] offset:48
	ds_store_b128 v125, v[100:103]
	ds_store_b128 v125, v[104:107] offset:16
	ds_store_b128 v20, v[108:111]
	ds_store_b128 v20, v[112:115] offset:16
	v_lshl_add_u32 v21, v169, 6, 0
	ds_store_b128 v20, v[52:55] offset:32
	ds_store_b128 v20, v[56:59] offset:48
	v_add_nc_u32_e32 v20, 0x118, v168
	v_add_nc_u32_e32 v22, 0x150, v168
	v_or_b32_e32 v23, 0x1c0, v168
	v_add_nc_u32_e32 v44, 0x188, v168
	ds_store_b128 v21, v[32:35]
	ds_store_b128 v21, v[36:39] offset:16
	scratch_store_b32 off, v20, off offset:24 ; 4-byte Folded Spill
	v_lshl_add_u32 v20, v20, 6, 0
	scratch_store_b32 off, v23, off offset:32 ; 4-byte Folded Spill
	ds_store_b128 v21, v[64:67] offset:32
	ds_store_b128 v21, v[60:63] offset:48
	v_lshl_add_u32 v21, v22, 6, 0
	scratch_store_b32 off, v22, off offset:16 ; 4-byte Folded Spill
	ds_store_b128 v20, v[24:27]
	ds_store_b128 v20, v[28:31] offset:16
	ds_store_b128 v20, v[76:79] offset:32
	;; [unrolled: 1-line block ×3, first 2 shown]
	v_lshl_add_u32 v20, v44, 6, 0
	scratch_store_b32 off, v44, off offset:40 ; 4-byte Folded Spill
	ds_store_b128 v21, v[40:43]
	ds_store_b128 v21, v[68:71] offset:16
	ds_store_b128 v21, v[84:87] offset:32
	;; [unrolled: 1-line block ×3, first 2 shown]
	ds_store_b128 v20, v[116:119]
	ds_store_b128 v20, v[120:123] offset:16
	ds_store_b128 v20, v[92:95] offset:32
	;; [unrolled: 1-line block ×3, first 2 shown]
	v_cmpx_gt_u32_e32 42, v168
	s_cbranch_execz .LBB0_23
; %bb.22:
	v_fma_f64 v[14:15], v[14:15], 2.0, -v[6:7]
	v_fma_f64 v[10:11], v[10:11], 2.0, -v[18:19]
	;; [unrolled: 1-line block ×6, first 2 shown]
	v_or_b32_e32 v16, 0x1c0, v168
	s_delay_alu instid0(VALU_DEP_1) | instskip(SKIP_2) | instid1(VALU_DEP_2)
	v_lshl_add_u32 v16, v16, 6, 0
	v_add_f64_e64 v[10:11], v[14:15], -v[10:11]
	v_add_f64_e64 v[8:9], v[12:13], -v[8:9]
	v_fma_f64 v[14:15], v[14:15], 2.0, -v[10:11]
	s_delay_alu instid0(VALU_DEP_2)
	v_fma_f64 v[12:13], v[12:13], 2.0, -v[8:9]
	ds_store_b128 v16, v[12:15]
	ds_store_b128 v16, v[4:7] offset:16
	ds_store_b128 v16, v[8:11] offset:32
	ds_store_b128 v16, v[0:3] offset:48
.LBB0_23:
	s_wait_alu 0xfffe
	s_or_b32 exec_lo, exec_lo, s4
	v_dual_mov_b32 v172, v168 :: v_dual_and_b32 v181, 3, v168
	global_wb scope:SCOPE_SE
	s_wait_storecnt_dscnt 0x0
	s_barrier_signal -1
	s_barrier_wait -1
	v_mul_u32_u24_e32 v4, 6, v181
	global_inv scope:SCOPE_SE
	s_mov_b32 s24, 0xe976ee23
	s_mov_b32 s14, 0x429ad128
	;; [unrolled: 1-line block ×3, first 2 shown]
	v_lshlrev_b32_e32 v4, 4, v4
	s_mov_b32 s15, 0x3febfeb5
	s_mov_b32 s20, 0x37e14327
	;; [unrolled: 1-line block ×4, first 2 shown]
	s_clause 0x5
	global_load_b128 v[28:31], v4, s[8:9]
	global_load_b128 v[16:19], v4, s[8:9] offset:16
	global_load_b128 v[12:15], v4, s[8:9] offset:32
	global_load_b128 v[8:11], v4, s[8:9] offset:48
	global_load_b128 v[20:23], v4, s[8:9] offset:64
	global_load_b128 v[24:27], v4, s[8:9] offset:80
	ds_load_b128 v[64:67], v230 offset:5376
	ds_load_b128 v[52:55], v230 offset:6272
	;; [unrolled: 1-line block ×31, first 2 shown]
	ds_load_b128 v[132:135], v230
	ds_load_b128 v[136:139], v230 offset:896
	ds_load_b128 v[164:167], v230 offset:1792
	;; [unrolled: 1-line block ×3, first 2 shown]
	s_mov_b32 s5, 0x3fac98ee
	s_mov_b32 s16, 0xb247c609
	;; [unrolled: 1-line block ×6, first 2 shown]
	scratch_store_b64 off, v[172:173], off offset:8 ; 8-byte Folded Spill
	v_lshrrev_b32_e32 v168, 2, v168
	v_lshrrev_b32_e32 v172, 2, v176
	;; [unrolled: 1-line block ×5, first 2 shown]
	s_mov_b32 s11, 0x3fe77f67
	s_mov_b32 s13, 0xbfe77f67
	s_wait_alu 0xfffe
	s_mov_b32 s12, s10
	v_mul_u32_u24_e32 v168, 28, v168
	v_mul_u32_u24_e32 v172, 28, v172
	;; [unrolled: 1-line block ×5, first 2 shown]
	v_or_b32_e32 v168, v168, v181
	v_or_b32_e32 v172, v172, v181
	;; [unrolled: 1-line block ×5, first 2 shown]
	s_mov_b32 s26, 0xaaaaaaaa
	s_mov_b32 s27, 0xbff2aaaa
	;; [unrolled: 1-line block ×4, first 2 shown]
	v_lshl_add_u32 v168, v168, 4, 0
	global_wb scope:SCOPE_SE
	s_wait_storecnt 0x0
	s_wait_loadcnt_dscnt 0x0
	s_barrier_signal -1
	s_barrier_wait -1
	global_inv scope:SCOPE_SE
	v_lshl_add_u32 v172, v172, 4, 0
	v_mul_f64_e32 v[183:184], v[70:71], v[30:31]
	v_mul_f64_e32 v[185:186], v[68:69], v[30:31]
	;; [unrolled: 1-line block ×37, first 2 shown]
	v_fma_f64 v[68:69], v[68:69], v[28:29], -v[183:184]
	v_fma_f64 v[70:71], v[70:71], v[28:29], v[185:186]
	v_mul_f64_e32 v[183:184], v[100:101], v[18:19]
	v_mul_f64_e32 v[185:186], v[130:131], v[14:15]
	v_fma_f64 v[64:65], v[64:65], v[28:29], -v[187:188]
	v_fma_f64 v[66:67], v[66:67], v[28:29], v[189:190]
	v_mul_f64_e32 v[187:188], v[128:129], v[14:15]
	v_mul_f64_e32 v[189:190], v[34:35], v[18:19]
	;; [unrolled: 4-line block ×3, first 2 shown]
	v_fma_f64 v[60:61], v[60:61], v[28:29], -v[195:196]
	v_fma_f64 v[62:63], v[62:63], v[28:29], v[197:198]
	v_mul_f64_e32 v[14:15], v[120:121], v[14:15]
	v_fma_f64 v[56:57], v[56:57], v[28:29], -v[199:200]
	v_fma_f64 v[28:29], v[58:59], v[28:29], v[30:31]
	v_mul_f64_e32 v[58:59], v[142:143], v[22:23]
	v_mul_f64_e32 v[195:196], v[74:75], v[26:27]
	v_fma_f64 v[50:51], v[50:51], v[16:17], v[203:204]
	v_mul_f64_e32 v[199:200], v[72:73], v[26:27]
	v_fma_f64 v[42:43], v[42:43], v[12:13], v[207:208]
	v_mul_f64_e32 v[203:204], v[152:153], v[26:27]
	v_mul_f64_e32 v[207:208], v[150:151], v[26:27]
	;; [unrolled: 1-line block ×5, first 2 shown]
	v_fma_f64 v[48:49], v[48:49], v[16:17], -v[201:202]
	v_mul_f64_e32 v[201:202], v[154:155], v[26:27]
	v_fma_f64 v[44:45], v[44:45], v[8:9], -v[209:210]
	v_fma_f64 v[46:47], v[46:47], v[8:9], v[211:212]
	v_mul_f64_e32 v[209:210], v[146:147], v[22:23]
	v_fma_f64 v[116:117], v[116:117], v[20:21], -v[213:214]
	v_mul_f64_e32 v[211:212], v[148:149], v[26:27]
	v_mul_f64_e32 v[213:214], v[158:159], v[26:27]
	v_fma_f64 v[40:41], v[40:41], v[12:13], -v[205:206]
	v_mul_f64_e32 v[205:206], v[82:83], v[10:11]
	v_mul_f64_e32 v[26:27], v[156:157], v[26:27]
	;; [unrolled: 1-line block ×4, first 2 shown]
	v_fma_f64 v[118:119], v[118:119], v[20:21], v[215:216]
	v_fma_f64 v[88:89], v[88:89], v[24:25], -v[217:218]
	v_fma_f64 v[90:91], v[90:91], v[24:25], v[219:220]
	v_fma_f64 v[36:37], v[36:37], v[16:17], -v[221:222]
	v_fma_f64 v[38:39], v[38:39], v[16:17], v[223:224]
	v_fma_f64 v[84:85], v[84:85], v[12:13], -v[225:226]
	v_fma_f64 v[86:87], v[86:87], v[12:13], v[227:228]
	v_fma_f64 v[108:109], v[108:109], v[20:21], -v[235:236]
	v_fma_f64 v[110:111], v[110:111], v[20:21], v[237:238]
	v_fma_f64 v[112:113], v[112:113], v[16:17], -v[239:240]
	v_fma_f64 v[114:115], v[114:115], v[16:17], v[241:242]
	v_fma_f64 v[92:93], v[92:93], v[12:13], -v[243:244]
	v_fma_f64 v[94:95], v[94:95], v[12:13], v[245:246]
	v_fma_f64 v[126:127], v[126:127], v[8:9], v[249:250]
	;; [unrolled: 1-line block ×3, first 2 shown]
	v_fma_f64 v[100:101], v[100:101], v[16:17], -v[179:180]
	v_fma_f64 v[72:73], v[72:73], v[24:25], -v[195:196]
	v_fma_f64 v[102:103], v[102:103], v[16:17], v[183:184]
	v_fma_f64 v[74:75], v[74:75], v[24:25], v[199:200]
	v_fma_f64 v[128:129], v[128:129], v[12:13], -v[185:186]
	v_fma_f64 v[130:131], v[130:131], v[12:13], v[187:188]
	v_fma_f64 v[32:33], v[32:33], v[16:17], -v[189:190]
	v_fma_f64 v[16:17], v[34:35], v[16:17], v[18:19]
	v_fma_f64 v[18:19], v[154:155], v[24:25], v[203:204]
	v_fma_f64 v[34:35], v[120:121], v[12:13], -v[191:192]
	v_fma_f64 v[12:13], v[122:123], v[12:13], v[14:15]
	v_fma_f64 v[14:15], v[148:149], v[24:25], -v[207:208]
	v_fma_f64 v[58:59], v[140:141], v[20:21], -v[58:59]
	;; [unrolled: 1-line block ×3, first 2 shown]
	v_fma_f64 v[78:79], v[78:79], v[8:9], v[233:234]
	v_fma_f64 v[96:97], v[96:97], v[20:21], -v[251:252]
	v_fma_f64 v[152:153], v[152:153], v[24:25], -v[201:202]
	;; [unrolled: 1-line block ×3, first 2 shown]
	v_fma_f64 v[120:121], v[150:151], v[24:25], v[211:212]
	v_fma_f64 v[122:123], v[142:143], v[20:21], v[197:198]
	v_fma_f64 v[30:31], v[106:107], v[8:9], v[30:31]
	v_fma_f64 v[106:107], v[156:157], v[24:25], -v[213:214]
	v_fma_f64 v[140:141], v[144:145], v[20:21], -v[209:210]
	;; [unrolled: 1-line block ×4, first 2 shown]
	v_fma_f64 v[24:25], v[158:159], v[24:25], v[26:27]
	v_fma_f64 v[20:21], v[146:147], v[20:21], v[22:23]
	;; [unrolled: 1-line block ×3, first 2 shown]
	v_add_f64_e32 v[10:11], v[68:69], v[88:89]
	v_add_f64_e32 v[22:23], v[70:71], v[90:91]
	;; [unrolled: 1-line block ×7, first 2 shown]
	v_add_f64_e64 v[68:69], v[68:69], -v[88:89]
	v_add_f64_e32 v[191:192], v[94:95], v[126:127]
	v_add_f64_e32 v[189:190], v[114:115], v[98:99]
	v_add_f64_e64 v[48:49], v[48:49], -v[116:117]
	v_add_f64_e32 v[146:147], v[64:65], v[72:73]
	v_add_f64_e64 v[40:41], v[44:45], -v[40:41]
	v_add_f64_e32 v[154:155], v[66:67], v[74:75]
	v_add_f64_e32 v[144:145], v[42:43], v[46:47]
	v_add_f64_e64 v[70:71], v[70:71], -v[90:91]
	v_add_f64_e64 v[50:51], v[50:51], -v[118:119]
	v_add_f64_e64 v[42:43], v[46:47], -v[42:43]
	v_add_f64_e32 v[187:188], v[54:55], v[18:19]
	v_add_f64_e64 v[44:45], v[64:65], -v[72:73]
	v_add_f64_e64 v[36:37], v[36:37], -v[108:109]
	v_add_f64_e32 v[193:194], v[60:61], v[14:15]
	v_add_f64_e32 v[195:196], v[100:101], v[58:59]
	;; [unrolled: 1-line block ×12, first 2 shown]
	v_add_f64_e64 v[64:65], v[76:77], -v[84:85]
	v_add_f64_e32 v[185:186], v[92:93], v[124:125]
	v_add_f64_e32 v[209:210], v[34:35], v[80:81]
	;; [unrolled: 1-line block ×5, first 2 shown]
	v_add_f64_e64 v[46:47], v[66:67], -v[74:75]
	v_add_f64_e64 v[38:39], v[38:39], -v[110:111]
	;; [unrolled: 1-line block ×20, first 2 shown]
	v_add_f64_e32 v[12:13], v[26:27], v[10:11]
	v_add_f64_e32 v[32:33], v[82:83], v[22:23]
	;; [unrolled: 1-line block ×6, first 2 shown]
	v_add_f64_e64 v[118:119], v[189:190], -v[187:188]
	v_add_f64_e64 v[120:121], v[187:188], -v[191:192]
	;; [unrolled: 1-line block ×3, first 2 shown]
	v_add_f64_e32 v[187:188], v[40:41], v[48:49]
	v_add_f64_e64 v[189:190], v[40:41], -v[48:49]
	v_add_f64_e64 v[48:49], v[48:49], -v[68:69]
	v_add_f64_e32 v[84:85], v[183:184], v[179:180]
	v_add_f64_e32 v[90:91], v[201:202], v[199:200]
	;; [unrolled: 1-line block ×3, first 2 shown]
	v_add_f64_e64 v[96:97], v[26:27], -v[10:11]
	v_add_f64_e64 v[98:99], v[142:143], -v[26:27]
	;; [unrolled: 1-line block ×12, first 2 shown]
	v_add_f64_e32 v[193:194], v[42:43], v[50:51]
	v_add_f64_e64 v[195:196], v[42:43], -v[50:51]
	v_add_f64_e64 v[50:51], v[50:51], -v[70:71]
	v_add_f64_e32 v[199:200], v[64:65], v[36:37]
	v_add_f64_e64 v[201:202], v[64:65], -v[36:37]
	v_add_f64_e64 v[56:57], v[56:57], -v[106:107]
	;; [unrolled: 3-line block ×3, first 2 shown]
	v_add_f64_e64 v[112:113], v[183:184], -v[179:180]
	v_add_f64_e64 v[114:115], v[179:180], -v[185:186]
	;; [unrolled: 1-line block ×8, first 2 shown]
	v_add_f64_e32 v[211:212], v[74:75], v[54:55]
	v_add_f64_e64 v[116:117], v[185:186], -v[183:184]
	v_add_f64_e64 v[152:153], v[205:206], -v[209:210]
	;; [unrolled: 1-line block ×3, first 2 shown]
	v_add_f64_e32 v[205:206], v[66:67], v[38:39]
	v_add_f64_e64 v[38:39], v[38:39], -v[46:47]
	v_add_f64_e32 v[213:214], v[76:77], v[72:73]
	v_add_f64_e32 v[217:218], v[78:79], v[58:59]
	;; [unrolled: 1-line block ×4, first 2 shown]
	v_add_f64_e64 v[225:226], v[74:75], -v[54:55]
	v_add_f64_e64 v[54:55], v[54:55], -v[52:53]
	;; [unrolled: 1-line block ×5, first 2 shown]
	v_add_f64_e32 v[142:143], v[142:143], v[12:13]
	v_add_f64_e32 v[32:33], v[144:145], v[32:33]
	v_add_f64_e64 v[82:83], v[144:145], -v[82:83]
	v_add_f64_e64 v[231:232], v[78:79], -v[58:59]
	v_add_f64_e32 v[223:224], v[8:9], v[16:17]
	v_add_f64_e64 v[227:228], v[76:77], -v[72:73]
	v_add_f64_e64 v[40:41], v[68:69], -v[40:41]
	;; [unrolled: 1-line block ×3, first 2 shown]
	v_add_f64_e32 v[34:35], v[150:151], v[34:35]
	v_add_f64_e32 v[80:81], v[158:159], v[80:81]
	;; [unrolled: 1-line block ×3, first 2 shown]
	v_mul_f64_e32 v[189:190], s[24:25], v[189:190]
	v_mul_f64_e32 v[197:198], s[14:15], v[48:49]
	v_add_f64_e64 v[58:59], v[58:59], -v[14:15]
	v_add_f64_e64 v[42:43], v[70:71], -v[42:43]
	v_add_f64_e64 v[64:65], v[44:45], -v[64:65]
	v_add_f64_e32 v[84:85], v[185:186], v[84:85]
	v_add_f64_e32 v[86:87], v[191:192], v[86:87]
	;; [unrolled: 1-line block ×4, first 2 shown]
	v_mul_f64_e32 v[195:196], s[24:25], v[195:196]
	v_mul_f64_e32 v[199:200], s[14:15], v[50:51]
	;; [unrolled: 1-line block ×5, first 2 shown]
	v_add_f64_e64 v[74:75], v[52:53], -v[74:75]
	v_add_f64_e64 v[233:234], v[30:31], -v[62:63]
	;; [unrolled: 1-line block ×5, first 2 shown]
	v_add_f64_e32 v[90:91], v[203:204], v[90:91]
	v_add_f64_e32 v[52:53], v[211:212], v[52:53]
	v_mul_f64_e32 v[211:212], s[14:15], v[36:37]
	v_mul_f64_e32 v[207:208], s[24:25], v[207:208]
	v_add_f64_e64 v[62:63], v[62:63], -v[60:61]
	v_add_f64_e64 v[66:67], v[46:47], -v[66:67]
	;; [unrolled: 1-line block ×4, first 2 shown]
	v_add_f64_e32 v[94:95], v[215:216], v[94:95]
	v_add_f64_e32 v[144:145], v[213:214], v[18:19]
	;; [unrolled: 1-line block ×5, first 2 shown]
	v_mul_f64_e32 v[213:214], s[14:15], v[38:39]
	v_mul_f64_e32 v[114:115], s[20:21], v[114:115]
	;; [unrolled: 1-line block ×7, first 2 shown]
	v_add_f64_e64 v[241:242], v[16:17], -v[24:25]
	v_add_f64_e64 v[239:240], v[24:25], -v[8:9]
	v_mul_f64_e32 v[185:186], s[20:21], v[10:11]
	v_mul_f64_e32 v[191:192], s[20:21], v[22:23]
	v_add_f64_e32 v[8:9], v[132:133], v[142:143]
	v_add_f64_e32 v[10:11], v[134:135], v[32:33]
	;; [unrolled: 1-line block ×4, first 2 shown]
	v_mul_f64_e32 v[187:188], s[4:5], v[98:99]
	v_mul_f64_e32 v[193:194], s[4:5], v[82:83]
	;; [unrolled: 1-line block ×3, first 2 shown]
	v_add_f64_e32 v[158:159], v[223:224], v[24:25]
	v_mul_f64_e32 v[223:224], s[24:25], v[227:228]
	v_add_f64_e64 v[76:77], v[18:19], -v[76:77]
	v_add_f64_e64 v[78:79], v[14:15], -v[78:79]
	v_mul_f64_e32 v[203:204], s[20:21], v[26:27]
	v_mul_f64_e32 v[225:226], s[14:15], v[72:73]
	v_add_f64_e32 v[12:13], v[136:137], v[34:35]
	v_add_f64_e32 v[14:15], v[138:139], v[80:81]
	v_fma_f64 v[48:49], v[48:49], s[14:15], -v[189:190]
	v_fma_f64 v[132:133], v[40:41], s[16:17], v[189:190]
	v_fma_f64 v[40:41], v[40:41], s[18:19], -v[197:198]
	v_add_f64_e32 v[46:47], v[205:206], v[46:47]
	v_mul_f64_e32 v[205:206], s[4:5], v[104:105]
	v_mul_f64_e32 v[126:127], s[20:21], v[126:127]
	;; [unrolled: 1-line block ×6, first 2 shown]
	v_add_f64_e32 v[16:17], v[164:165], v[84:85]
	v_add_f64_e32 v[18:19], v[166:167], v[86:87]
	v_fma_f64 v[50:51], v[50:51], s[14:15], -v[195:196]
	v_fma_f64 v[134:135], v[42:43], s[16:17], v[195:196]
	v_fma_f64 v[42:43], v[42:43], s[18:19], -v[199:200]
	v_fma_f64 v[110:111], v[110:111], s[4:5], v[108:109]
	v_fma_f64 v[138:139], v[106:107], s[10:11], -v[209:210]
	v_fma_f64 v[106:107], v[106:107], s[12:13], -v[108:109]
	;; [unrolled: 1-line block ×3, first 2 shown]
	v_fma_f64 v[108:109], v[64:65], s[16:17], v[201:202]
	v_mul_f64_e32 v[233:234], s[24:25], v[233:234]
	v_mul_f64_e32 v[253:254], s[24:25], v[20:21]
	;; [unrolled: 1-line block ×4, first 2 shown]
	v_add_f64_e32 v[20:21], v[160:161], v[88:89]
	v_add_f64_e32 v[22:23], v[162:163], v[90:91]
	v_fma_f64 v[64:65], v[64:65], s[18:19], -v[211:212]
	v_fma_f64 v[38:39], v[38:39], s[14:15], -v[207:208]
	v_mul_f64_e32 v[247:248], s[14:15], v[62:63]
	v_mul_f64_e32 v[152:153], s[20:21], v[152:153]
	;; [unrolled: 1-line block ×4, first 2 shown]
	v_add_f64_e32 v[24:25], v[4:5], v[92:93]
	v_add_f64_e32 v[26:27], v[6:7], v[94:95]
	v_fma_f64 v[160:161], v[66:67], s[16:17], v[207:208]
	v_fma_f64 v[66:67], v[66:67], s[18:19], -v[213:214]
	v_fma_f64 v[116:117], v[116:117], s[4:5], v[114:115]
	v_fma_f64 v[162:163], v[112:113], s[10:11], -v[215:216]
	v_fma_f64 v[112:113], v[112:113], s[12:13], -v[114:115]
	v_fma_f64 v[114:115], v[122:123], s[4:5], v[120:121]
	v_fma_f64 v[122:123], v[118:119], s[10:11], -v[217:218]
	v_fma_f64 v[118:119], v[118:119], s[12:13], -v[120:121]
	;; [unrolled: 1-line block ×3, first 2 shown]
	v_fma_f64 v[120:121], v[74:75], s[16:17], v[219:220]
	v_fma_f64 v[74:75], v[74:75], s[18:19], -v[221:222]
	v_mul_f64_e32 v[251:252], s[14:15], v[28:29]
	v_mul_f64_e32 v[177:178], s[14:15], v[241:242]
	v_fma_f64 v[4:5], v[98:99], s[4:5], v[185:186]
	v_fma_f64 v[82:83], v[82:83], s[4:5], v[191:192]
	s_wait_alu 0xfffe
	v_fma_f64 v[142:143], v[142:143], s[26:27], v[8:9]
	v_fma_f64 v[32:33], v[32:33], s[26:27], v[10:11]
	v_fma_f64 v[6:7], v[96:97], s[10:11], -v[187:188]
	v_fma_f64 v[96:97], v[96:97], s[12:13], -v[185:186]
	;; [unrolled: 1-line block ×6, first 2 shown]
	v_fma_f64 v[104:105], v[104:105], s[4:5], v[203:204]
	v_fma_f64 v[164:165], v[76:77], s[16:17], v[223:224]
	v_fma_f64 v[76:77], v[76:77], s[18:19], -v[225:226]
	v_fma_f64 v[132:133], v[68:69], s[22:23], v[132:133]
	v_fma_f64 v[48:49], v[68:69], s[22:23], v[48:49]
	;; [unrolled: 1-line block ×5, first 2 shown]
	v_fma_f64 v[136:137], v[102:103], s[10:11], -v[205:206]
	v_fma_f64 v[102:103], v[102:103], s[12:13], -v[203:204]
	v_fma_f64 v[128:129], v[128:129], s[4:5], v[126:127]
	v_fma_f64 v[166:167], v[124:125], s[10:11], -v[227:228]
	v_fma_f64 v[124:125], v[124:125], s[12:13], -v[126:127]
	v_fma_f64 v[126:127], v[146:147], s[4:5], v[140:141]
	;; [unrolled: 3-line block ×3, first 2 shown]
	v_fma_f64 v[78:79], v[78:79], s[18:19], -v[245:246]
	v_fma_f64 v[134:135], v[70:71], s[22:23], v[134:135]
	v_fma_f64 v[50:51], v[70:71], s[22:23], v[50:51]
	;; [unrolled: 1-line block ×9, first 2 shown]
	v_fma_f64 v[174:175], v[156:157], s[10:11], -v[174:175]
	v_fma_f64 v[156:157], v[156:157], s[12:13], -v[179:180]
	v_fma_f64 v[179:180], v[44:45], s[22:23], v[64:65]
	v_fma_f64 v[64:65], v[46:47], s[22:23], v[38:39]
	;; [unrolled: 1-line block ×4, first 2 shown]
	v_fma_f64 v[30:31], v[30:31], s[18:19], -v[247:248]
	v_fma_f64 v[62:63], v[62:63], s[14:15], -v[233:234]
	v_fma_f64 v[154:155], v[154:155], s[4:5], v[152:153]
	v_fma_f64 v[187:188], v[148:149], s[10:11], -v[249:250]
	v_fma_f64 v[148:149], v[148:149], s[12:13], -v[152:153]
	v_fma_f64 v[152:153], v[237:238], s[16:17], v[235:236]
	v_fma_f64 v[193:194], v[239:240], s[16:17], v[253:254]
	;; [unrolled: 1-line block ×9, first 2 shown]
	v_fma_f64 v[189:190], v[237:238], s[18:19], -v[251:252]
	v_fma_f64 v[191:192], v[241:242], s[14:15], -v[253:254]
	;; [unrolled: 1-line block ×4, first 2 shown]
	v_add_f64_e32 v[4:5], v[4:5], v[142:143]
	v_add_f64_e32 v[54:55], v[82:83], v[32:33]
	v_fma_f64 v[199:200], v[150:151], s[22:23], v[58:59]
	v_add_f64_e32 v[58:59], v[96:97], v[142:143]
	v_add_f64_e32 v[66:67], v[100:101], v[32:33]
	v_fma_f64 v[88:89], v[144:145], s[22:23], v[72:73]
	;; [unrolled: 3-line block ×3, first 2 shown]
	v_fma_f64 v[144:145], v[144:145], s[22:23], v[76:77]
	v_add_f64_e32 v[74:75], v[104:105], v[34:35]
	v_add_f64_e32 v[76:77], v[110:111], v[40:41]
	v_fma_f64 v[140:141], v[150:151], s[22:23], v[140:141]
	v_fma_f64 v[150:151], v[150:151], s[22:23], v[78:79]
	v_add_f64_e32 v[78:79], v[102:103], v[34:35]
	v_add_f64_e32 v[82:83], v[106:107], v[40:41]
	;; [unrolled: 1-line block ×10, first 2 shown]
	v_fma_f64 v[185:186], v[60:61], s[22:23], v[185:186]
	v_add_f64_e32 v[122:123], v[128:129], v[38:39]
	v_add_f64_e32 v[126:127], v[126:127], v[44:45]
	v_fma_f64 v[201:202], v[60:61], s[22:23], v[30:31]
	v_add_f64_e32 v[116:117], v[124:125], v[38:39]
	v_add_f64_e32 v[118:119], v[130:131], v[44:45]
	;; [unrolled: 3-line block ×3, first 2 shown]
	v_fma_f64 v[152:153], v[56:57], s[22:23], v[152:153]
	v_fma_f64 v[193:194], v[158:159], s[22:23], v[193:194]
	v_add_f64_e32 v[146:147], v[154:155], v[46:47]
	v_add_f64_e32 v[154:155], v[183:184], v[52:53]
	v_fma_f64 v[189:190], v[56:57], s[22:23], v[189:190]
	v_fma_f64 v[136:137], v[158:159], s[22:23], v[191:192]
	;; [unrolled: 1-line block ×3, first 2 shown]
	v_add_f64_e32 v[148:149], v[148:149], v[46:47]
	v_add_f64_e32 v[156:157], v[156:157], v[52:53]
	v_fma_f64 v[203:204], v[56:57], s[22:23], v[28:29]
	v_add_f64_e32 v[138:139], v[187:188], v[46:47]
	v_add_f64_e32 v[162:163], v[174:175], v[52:53]
	;; [unrolled: 1-line block ×3, first 2 shown]
	v_add_f64_e64 v[30:31], v[54:55], -v[132:133]
	v_add_f64_e32 v[32:33], v[70:71], v[58:59]
	v_add_f64_e64 v[34:35], v[66:67], -v[68:69]
	v_add_f64_e64 v[36:37], v[6:7], -v[50:51]
	v_add_f64_e32 v[38:39], v[48:49], v[72:73]
	v_add_f64_e32 v[40:41], v[50:51], v[6:7]
	v_add_f64_e64 v[42:43], v[72:73], -v[48:49]
	v_add_f64_e64 v[44:45], v[58:59], -v[70:71]
	v_add_f64_e32 v[46:47], v[68:69], v[66:67]
	v_add_f64_e64 v[48:49], v[4:5], -v[134:135]
	v_add_f64_e32 v[50:51], v[132:133], v[54:55]
	v_add_f64_e32 v[52:53], v[160:161], v[74:75]
	v_add_f64_e64 v[54:55], v[76:77], -v[80:81]
	v_add_f64_e32 v[56:57], v[84:85], v[78:79]
	v_add_f64_e64 v[58:59], v[82:83], -v[179:180]
	v_add_f64_e64 v[60:61], v[86:87], -v[64:65]
	v_add_f64_e32 v[62:63], v[108:109], v[90:91]
	v_add_f64_e32 v[64:65], v[64:65], v[86:87]
	v_add_f64_e64 v[66:67], v[90:91], -v[108:109]
	v_add_f64_e64 v[68:69], v[78:79], -v[84:85]
	v_add_f64_e32 v[70:71], v[179:180], v[82:83]
	v_add_f64_e64 v[72:73], v[74:75], -v[160:161]
	v_add_f64_e32 v[74:75], v[80:81], v[76:77]
	v_add_f64_e32 v[76:77], v[164:165], v[96:97]
	;; [unrolled: 12-line block ×4, first 2 shown]
	v_add_f64_e64 v[126:127], v[154:155], -v[152:153]
	v_add_f64_e32 v[128:129], v[158:159], v[148:149]
	v_add_f64_e64 v[130:131], v[156:157], -v[189:190]
	v_add_f64_e64 v[132:133], v[138:139], -v[136:137]
	v_add_f64_e32 v[134:135], v[203:204], v[162:163]
	v_add_f64_e32 v[136:137], v[136:137], v[138:139]
	v_add_f64_e64 v[138:139], v[162:163], -v[203:204]
	v_add_f64_e64 v[140:141], v[148:149], -v[158:159]
	v_add_f64_e32 v[142:143], v[189:190], v[156:157]
	v_add_f64_e64 v[4:5], v[146:147], -v[193:194]
	v_add_f64_e32 v[6:7], v[152:153], v[154:155]
	v_lshl_add_u32 v144, v182, 4, 0
	v_lshl_add_u32 v145, v173, 4, 0
	;; [unrolled: 1-line block ×3, first 2 shown]
	ds_store_b128 v168, v[8:11]
	ds_store_b128 v168, v[28:31] offset:64
	ds_store_b128 v168, v[32:35] offset:128
	ds_store_b128 v168, v[36:39] offset:192
	ds_store_b128 v168, v[40:43] offset:256
	ds_store_b128 v168, v[44:47] offset:320
	ds_store_b128 v168, v[48:51] offset:384
	ds_store_b128 v172, v[12:15]
	ds_store_b128 v172, v[52:55] offset:64
	ds_store_b128 v172, v[56:59] offset:128
	ds_store_b128 v172, v[60:63] offset:192
	ds_store_b128 v172, v[64:67] offset:256
	ds_store_b128 v172, v[68:71] offset:320
	ds_store_b128 v172, v[72:75] offset:384
	;; [unrolled: 7-line block ×5, first 2 shown]
	global_wb scope:SCOPE_SE
	s_wait_dscnt 0x0
	s_barrier_signal -1
	s_barrier_wait -1
	global_inv scope:SCOPE_SE
	ds_load_b128 v[72:75], v230
	ds_load_b128 v[68:71], v230 offset:896
	ds_load_b128 v[136:139], v230 offset:16576
	;; [unrolled: 1-line block ×33, first 2 shown]
	s_and_saveexec_b32 s1, s0
	s_cbranch_execz .LBB0_25
; %bb.24:
	ds_load_b128 v[4:7], v230 offset:15232
	ds_load_b128 v[0:3], v230 offset:30912
.LBB0_25:
	s_wait_alu 0xfffe
	s_or_b32 exec_lo, exec_lo, s1
	scratch_load_b64 v[190:191], off, off offset:8 ; 8-byte Folded Reload
	v_lshrrev_b16 v146, 2, v176
	s_delay_alu instid0(VALU_DEP_1) | instskip(NEXT) | instid1(VALU_DEP_1)
	v_and_b32_e32 v146, 63, v146
	v_mul_lo_u16 v146, v146, 37
	s_delay_alu instid0(VALU_DEP_1) | instskip(NEXT) | instid1(VALU_DEP_1)
	v_lshrrev_b16 v146, 8, v146
	v_mul_lo_u16 v149, v146, 28
	s_delay_alu instid0(VALU_DEP_1) | instskip(NEXT) | instid1(VALU_DEP_1)
	v_sub_nc_u16 v149, v176, v149
	v_dual_mov_b32 v148, 0 :: v_dual_and_b32 v149, 0xff, v149
	s_delay_alu instid0(VALU_DEP_1) | instskip(SKIP_2) | instid1(VALU_DEP_1)
	v_lshlrev_b32_e32 v149, 4, v149
	s_wait_loadcnt 0x0
	v_subrev_nc_u32_e32 v144, 28, v190
	v_cndmask_b32_e64 v147, v144, v190, s0
	s_delay_alu instid0(VALU_DEP_1) | instskip(NEXT) | instid1(VALU_DEP_1)
	v_lshlrev_b64_e32 v[144:145], 4, v[147:148]
	v_add_co_u32 v144, s1, s8, v144
	s_wait_alu 0xf1ff
	s_delay_alu instid0(VALU_DEP_2)
	v_add_co_ci_u32_e64 v145, s1, s9, v145, s1
	v_cmp_lt_u32_e64 s1, 27, v190
	s_clause 0x1
	global_load_b128 v[150:153], v[144:145], off offset:384
	global_load_b128 v[154:157], v149, s[8:9] offset:384
	s_wait_loadcnt_dscnt 0x103
	v_mul_f64_e32 v[144:145], v[142:143], v[152:153]
	s_delay_alu instid0(VALU_DEP_1) | instskip(SKIP_1) | instid1(VALU_DEP_1)
	v_fma_f64 v[144:145], v[140:141], v[150:151], -v[144:145]
	v_mul_f64_e32 v[140:141], v[140:141], v[152:153]
	v_fma_f64 v[142:143], v[142:143], v[150:151], v[140:141]
	s_wait_loadcnt 0x0
	v_mul_f64_e32 v[140:141], v[138:139], v[156:157]
	s_delay_alu instid0(VALU_DEP_1) | instskip(SKIP_1) | instid1(VALU_DEP_1)
	v_fma_f64 v[140:141], v[136:137], v[154:155], -v[140:141]
	v_mul_f64_e32 v[136:137], v[136:137], v[156:157]
	v_fma_f64 v[136:137], v[138:139], v[154:155], v[136:137]
	v_lshrrev_b16 v138, 2, v255
	v_lshrrev_b16 v139, 2, v229
	s_delay_alu instid0(VALU_DEP_2) | instskip(NEXT) | instid1(VALU_DEP_2)
	v_and_b32_e32 v138, 63, v138
	v_and_b32_e32 v139, 63, v139
	s_delay_alu instid0(VALU_DEP_2) | instskip(NEXT) | instid1(VALU_DEP_2)
	v_mul_lo_u16 v138, v138, 37
	v_mul_lo_u16 v139, v139, 37
	s_delay_alu instid0(VALU_DEP_2) | instskip(NEXT) | instid1(VALU_DEP_2)
	v_lshrrev_b16 v152, 8, v138
	v_lshrrev_b16 v150, 8, v139
	s_delay_alu instid0(VALU_DEP_2) | instskip(NEXT) | instid1(VALU_DEP_2)
	v_mul_lo_u16 v138, v152, 28
	v_mul_lo_u16 v139, v150, 28
	s_delay_alu instid0(VALU_DEP_2) | instskip(NEXT) | instid1(VALU_DEP_2)
	v_sub_nc_u16 v138, v255, v138
	v_sub_nc_u16 v139, v229, v139
	s_delay_alu instid0(VALU_DEP_2) | instskip(NEXT) | instid1(VALU_DEP_2)
	v_and_b32_e32 v138, 0xff, v138
	v_and_b32_e32 v139, 0xff, v139
	s_delay_alu instid0(VALU_DEP_2) | instskip(NEXT) | instid1(VALU_DEP_2)
	v_lshlrev_b32_e32 v153, 4, v138
	v_lshlrev_b32_e32 v151, 4, v139
	s_clause 0x1
	global_load_b128 v[154:157], v153, s[8:9] offset:384
	global_load_b128 v[158:161], v151, s[8:9] offset:384
	scratch_load_b32 v192, off, off offset:24 th:TH_LOAD_LU ; 4-byte Folded Reload
	s_wait_loadcnt 0x2
	v_mul_f64_e32 v[138:139], v[134:135], v[156:157]
	s_delay_alu instid0(VALU_DEP_1) | instskip(SKIP_1) | instid1(VALU_DEP_1)
	v_fma_f64 v[138:139], v[132:133], v[154:155], -v[138:139]
	v_mul_f64_e32 v[132:133], v[132:133], v[156:157]
	v_fma_f64 v[134:135], v[134:135], v[154:155], v[132:133]
	s_wait_loadcnt 0x1
	v_mul_f64_e32 v[132:133], v[130:131], v[160:161]
	s_delay_alu instid0(VALU_DEP_1) | instskip(SKIP_1) | instid1(VALU_DEP_1)
	v_fma_f64 v[132:133], v[128:129], v[158:159], -v[132:133]
	v_mul_f64_e32 v[128:129], v[128:129], v[160:161]
	v_fma_f64 v[128:129], v[130:131], v[158:159], v[128:129]
	v_lshrrev_b16 v130, 2, v169
	s_wait_loadcnt 0x0
	v_lshrrev_b16 v131, 2, v192
	s_delay_alu instid0(VALU_DEP_2) | instskip(NEXT) | instid1(VALU_DEP_2)
	v_and_b32_e32 v130, 0xffff, v130
	v_and_b32_e32 v131, 0xffff, v131
	s_delay_alu instid0(VALU_DEP_2) | instskip(NEXT) | instid1(VALU_DEP_2)
	v_mul_u32_u24_e32 v130, 0x4925, v130
	v_mul_u32_u24_e32 v131, 0x4925, v131
	s_delay_alu instid0(VALU_DEP_2) | instskip(NEXT) | instid1(VALU_DEP_2)
	v_lshrrev_b32_e32 v155, 17, v130
	v_lshrrev_b32_e32 v154, 17, v131
	s_delay_alu instid0(VALU_DEP_2) | instskip(NEXT) | instid1(VALU_DEP_2)
	v_mul_lo_u16 v130, v155, 28
	v_mul_lo_u16 v131, v154, 28
	s_delay_alu instid0(VALU_DEP_2) | instskip(NEXT) | instid1(VALU_DEP_2)
	v_sub_nc_u16 v130, v169, v130
	v_sub_nc_u16 v131, v192, v131
	s_delay_alu instid0(VALU_DEP_2) | instskip(NEXT) | instid1(VALU_DEP_2)
	v_and_b32_e32 v130, 0xffff, v130
	v_and_b32_e32 v131, 0xffff, v131
	s_delay_alu instid0(VALU_DEP_2) | instskip(NEXT) | instid1(VALU_DEP_2)
	v_lshlrev_b32_e32 v157, 4, v130
	v_lshlrev_b32_e32 v156, 4, v131
	s_clause 0x1
	global_load_b128 v[158:161], v157, s[8:9] offset:384
	global_load_b128 v[162:165], v156, s[8:9] offset:384
	scratch_load_b32 v191, off, off offset:16 th:TH_LOAD_LU ; 4-byte Folded Reload
	s_wait_loadcnt 0x2
	v_mul_f64_e32 v[130:131], v[126:127], v[160:161]
	s_delay_alu instid0(VALU_DEP_1) | instskip(SKIP_1) | instid1(VALU_DEP_1)
	v_fma_f64 v[130:131], v[124:125], v[158:159], -v[130:131]
	v_mul_f64_e32 v[124:125], v[124:125], v[160:161]
	v_fma_f64 v[124:125], v[126:127], v[158:159], v[124:125]
	s_wait_loadcnt 0x1
	v_mul_f64_e32 v[126:127], v[122:123], v[164:165]
	s_delay_alu instid0(VALU_DEP_1) | instskip(SKIP_1) | instid1(VALU_DEP_1)
	v_fma_f64 v[126:127], v[120:121], v[162:163], -v[126:127]
	v_mul_f64_e32 v[120:121], v[120:121], v[164:165]
	v_fma_f64 v[120:121], v[122:123], v[162:163], v[120:121]
	scratch_load_b32 v123, off, off offset:40 th:TH_LOAD_LU ; 4-byte Folded Reload
	s_wait_loadcnt 0x0
	v_lshrrev_b16 v122, 2, v123
	s_delay_alu instid0(VALU_DEP_1) | instskip(NEXT) | instid1(VALU_DEP_1)
	v_and_b32_e32 v122, 0xffff, v122
	v_mul_u32_u24_e32 v122, 0x4925, v122
	s_delay_alu instid0(VALU_DEP_1) | instskip(NEXT) | instid1(VALU_DEP_1)
	v_lshrrev_b32_e32 v166, 17, v122
	v_mul_lo_u16 v122, v166, 28
	s_delay_alu instid0(VALU_DEP_1) | instskip(SKIP_1) | instid1(VALU_DEP_2)
	v_sub_nc_u16 v122, v123, v122
	v_lshrrev_b16 v123, 2, v191
	v_and_b32_e32 v122, 0xffff, v122
	s_delay_alu instid0(VALU_DEP_2) | instskip(NEXT) | instid1(VALU_DEP_2)
	v_and_b32_e32 v123, 0xffff, v123
	v_lshlrev_b32_e32 v172, 4, v122
	s_delay_alu instid0(VALU_DEP_2) | instskip(NEXT) | instid1(VALU_DEP_1)
	v_mul_u32_u24_e32 v123, 0x4925, v123
	v_lshrrev_b32_e32 v167, 17, v123
	s_delay_alu instid0(VALU_DEP_1) | instskip(NEXT) | instid1(VALU_DEP_1)
	v_mul_lo_u16 v123, v167, 28
	v_sub_nc_u16 v123, v191, v123
	s_delay_alu instid0(VALU_DEP_1) | instskip(NEXT) | instid1(VALU_DEP_1)
	v_and_b32_e32 v123, 0xffff, v123
	v_lshlrev_b32_e32 v168, 4, v123
	s_clause 0x1
	global_load_b128 v[158:161], v168, s[8:9] offset:384
	global_load_b128 v[162:165], v172, s[8:9] offset:384
	s_wait_loadcnt 0x1
	v_mul_f64_e32 v[122:123], v[118:119], v[160:161]
	s_delay_alu instid0(VALU_DEP_1) | instskip(SKIP_1) | instid1(VALU_DEP_1)
	v_fma_f64 v[122:123], v[116:117], v[158:159], -v[122:123]
	v_mul_f64_e32 v[116:117], v[116:117], v[160:161]
	v_fma_f64 v[158:159], v[118:119], v[158:159], v[116:117]
	s_wait_loadcnt 0x0
	v_mul_f64_e32 v[116:117], v[114:115], v[164:165]
	s_delay_alu instid0(VALU_DEP_1) | instskip(SKIP_1) | instid1(VALU_DEP_1)
	v_fma_f64 v[160:161], v[112:113], v[162:163], -v[116:117]
	v_mul_f64_e32 v[112:113], v[112:113], v[164:165]
	v_fma_f64 v[162:163], v[114:115], v[162:163], v[112:113]
	scratch_load_b32 v113, off, off offset:32 th:TH_LOAD_LU ; 4-byte Folded Reload
	s_wait_loadcnt 0x0
	v_lshrrev_b16 v112, 2, v113
	s_delay_alu instid0(VALU_DEP_1) | instskip(NEXT) | instid1(VALU_DEP_1)
	v_and_b32_e32 v112, 0xffff, v112
	v_mul_u32_u24_e32 v112, 0x4925, v112
	s_delay_alu instid0(VALU_DEP_1) | instskip(NEXT) | instid1(VALU_DEP_1)
	v_lshrrev_b32_e32 v173, 17, v112
	v_mul_lo_u16 v112, v173, 28
	s_delay_alu instid0(VALU_DEP_1) | instskip(SKIP_1) | instid1(VALU_DEP_2)
	v_sub_nc_u16 v112, v113, v112
	v_add_nc_u16 v113, v190, 0x1f8
	v_and_b32_e32 v112, 0xffff, v112
	s_delay_alu instid0(VALU_DEP_2) | instskip(NEXT) | instid1(VALU_DEP_2)
	v_lshrrev_b16 v114, 2, v113
	v_lshlrev_b32_e32 v175, 4, v112
	s_delay_alu instid0(VALU_DEP_2) | instskip(NEXT) | instid1(VALU_DEP_1)
	v_and_b32_e32 v114, 0xffff, v114
	v_mul_u32_u24_e32 v114, 0x4925, v114
	s_delay_alu instid0(VALU_DEP_1) | instskip(NEXT) | instid1(VALU_DEP_1)
	v_lshrrev_b32_e32 v174, 17, v114
	v_mul_lo_u16 v114, v174, 28
	s_delay_alu instid0(VALU_DEP_1) | instskip(NEXT) | instid1(VALU_DEP_1)
	v_sub_nc_u16 v113, v113, v114
	v_and_b32_e32 v113, 0xffff, v113
	s_delay_alu instid0(VALU_DEP_1)
	v_lshlrev_b32_e32 v177, 4, v113
	s_clause 0x1
	global_load_b128 v[112:115], v175, s[8:9] offset:384
	global_load_b128 v[116:119], v177, s[8:9] offset:384
	s_wait_loadcnt 0x1
	v_mul_f64_e32 v[164:165], v[110:111], v[114:115]
	s_delay_alu instid0(VALU_DEP_1) | instskip(SKIP_1) | instid1(VALU_DEP_1)
	v_fma_f64 v[164:165], v[108:109], v[112:113], -v[164:165]
	v_mul_f64_e32 v[108:109], v[108:109], v[114:115]
	v_fma_f64 v[112:113], v[110:111], v[112:113], v[108:109]
	s_wait_loadcnt 0x0
	v_mul_f64_e32 v[108:109], v[106:107], v[118:119]
	s_delay_alu instid0(VALU_DEP_1) | instskip(SKIP_1) | instid1(VALU_DEP_1)
	v_fma_f64 v[114:115], v[104:105], v[116:117], -v[108:109]
	v_mul_f64_e32 v[104:105], v[104:105], v[118:119]
	v_fma_f64 v[116:117], v[106:107], v[116:117], v[104:105]
	v_add_nc_u16 v104, v190, 0x230
	s_delay_alu instid0(VALU_DEP_1) | instskip(NEXT) | instid1(VALU_DEP_1)
	v_lshrrev_b16 v105, 2, v104
	v_and_b32_e32 v105, 0xffff, v105
	s_delay_alu instid0(VALU_DEP_1) | instskip(NEXT) | instid1(VALU_DEP_1)
	v_mul_u32_u24_e32 v105, 0x4925, v105
	v_lshrrev_b32_e32 v178, 17, v105
	s_delay_alu instid0(VALU_DEP_1) | instskip(NEXT) | instid1(VALU_DEP_1)
	v_mul_lo_u16 v105, v178, 28
	v_sub_nc_u16 v104, v104, v105
	v_add_nc_u16 v105, v190, 0x268
	s_delay_alu instid0(VALU_DEP_2) | instskip(NEXT) | instid1(VALU_DEP_2)
	v_and_b32_e32 v104, 0xffff, v104
	v_lshrrev_b16 v106, 2, v105
	s_delay_alu instid0(VALU_DEP_2) | instskip(NEXT) | instid1(VALU_DEP_2)
	v_lshlrev_b32_e32 v180, 4, v104
	v_and_b32_e32 v106, 0xffff, v106
	s_delay_alu instid0(VALU_DEP_1) | instskip(NEXT) | instid1(VALU_DEP_1)
	v_mul_u32_u24_e32 v106, 0x4925, v106
	v_lshrrev_b32_e32 v179, 17, v106
	s_delay_alu instid0(VALU_DEP_1) | instskip(NEXT) | instid1(VALU_DEP_1)
	v_mul_lo_u16 v106, v179, 28
	v_sub_nc_u16 v105, v105, v106
	s_delay_alu instid0(VALU_DEP_1) | instskip(NEXT) | instid1(VALU_DEP_1)
	v_and_b32_e32 v105, 0xffff, v105
	v_lshlrev_b32_e32 v181, 4, v105
	s_clause 0x1
	global_load_b128 v[104:107], v180, s[8:9] offset:384
	global_load_b128 v[108:111], v181, s[8:9] offset:384
	s_wait_loadcnt 0x1
	v_mul_f64_e32 v[118:119], v[102:103], v[106:107]
	s_delay_alu instid0(VALU_DEP_1) | instskip(SKIP_1) | instid1(VALU_DEP_1)
	v_fma_f64 v[118:119], v[100:101], v[104:105], -v[118:119]
	v_mul_f64_e32 v[100:101], v[100:101], v[106:107]
	v_fma_f64 v[104:105], v[102:103], v[104:105], v[100:101]
	s_wait_loadcnt 0x0
	v_mul_f64_e32 v[100:101], v[98:99], v[110:111]
	s_delay_alu instid0(VALU_DEP_1) | instskip(SKIP_1) | instid1(VALU_DEP_1)
	v_fma_f64 v[106:107], v[96:97], v[108:109], -v[100:101]
	v_mul_f64_e32 v[96:97], v[96:97], v[110:111]
	v_fma_f64 v[108:109], v[98:99], v[108:109], v[96:97]
	v_add_nc_u16 v96, v190, 0x2a0
	s_delay_alu instid0(VALU_DEP_1) | instskip(NEXT) | instid1(VALU_DEP_1)
	v_lshrrev_b16 v97, 2, v96
	v_and_b32_e32 v97, 0xffff, v97
	s_delay_alu instid0(VALU_DEP_1) | instskip(NEXT) | instid1(VALU_DEP_1)
	v_mul_u32_u24_e32 v97, 0x4925, v97
	v_lshrrev_b32_e32 v182, 17, v97
	s_delay_alu instid0(VALU_DEP_1) | instskip(NEXT) | instid1(VALU_DEP_1)
	v_mul_lo_u16 v97, v182, 28
	v_sub_nc_u16 v96, v96, v97
	v_add_nc_u16 v97, v190, 0x2d8
	s_delay_alu instid0(VALU_DEP_2) | instskip(NEXT) | instid1(VALU_DEP_2)
	v_and_b32_e32 v96, 0xffff, v96
	v_lshrrev_b16 v98, 2, v97
	s_delay_alu instid0(VALU_DEP_2) | instskip(NEXT) | instid1(VALU_DEP_2)
	v_lshlrev_b32_e32 v184, 4, v96
	v_and_b32_e32 v98, 0xffff, v98
	s_delay_alu instid0(VALU_DEP_1) | instskip(NEXT) | instid1(VALU_DEP_1)
	v_mul_u32_u24_e32 v98, 0x4925, v98
	v_lshrrev_b32_e32 v183, 17, v98
	s_delay_alu instid0(VALU_DEP_1) | instskip(NEXT) | instid1(VALU_DEP_1)
	v_mul_lo_u16 v98, v183, 28
	v_sub_nc_u16 v97, v97, v98
	s_delay_alu instid0(VALU_DEP_1) | instskip(NEXT) | instid1(VALU_DEP_1)
	v_and_b32_e32 v97, 0xffff, v97
	;; [unrolled: 41-line block ×3, first 2 shown]
	v_lshlrev_b32_e32 v189, 4, v89
	s_clause 0x1
	global_load_b128 v[88:91], v188, s[8:9] offset:384
	global_load_b128 v[92:95], v189, s[8:9] offset:384
	s_wait_loadcnt 0x1
	v_mul_f64_e32 v[102:103], v[82:83], v[90:91]
	s_delay_alu instid0(VALU_DEP_1) | instskip(SKIP_1) | instid1(VALU_DEP_1)
	v_fma_f64 v[102:103], v[80:81], v[88:89], -v[102:103]
	v_mul_f64_e32 v[80:81], v[80:81], v[90:91]
	v_fma_f64 v[88:89], v[82:83], v[88:89], v[80:81]
	s_wait_loadcnt_dscnt 0x1
	v_mul_f64_e32 v[80:81], v[86:87], v[94:95]
	s_delay_alu instid0(VALU_DEP_1) | instskip(SKIP_1) | instid1(VALU_DEP_1)
	v_fma_f64 v[90:91], v[84:85], v[92:93], -v[80:81]
	v_mul_f64_e32 v[80:81], v[84:85], v[94:95]
	v_fma_f64 v[84:85], v[86:87], v[92:93], v[80:81]
	v_or_b32_e32 v80, 0x380, v190
	s_delay_alu instid0(VALU_DEP_1) | instskip(NEXT) | instid1(VALU_DEP_1)
	v_lshrrev_b16 v81, 2, v80
	v_and_b32_e32 v81, 0xffff, v81
	s_delay_alu instid0(VALU_DEP_1) | instskip(NEXT) | instid1(VALU_DEP_1)
	v_mul_u32_u24_e32 v81, 0x4925, v81
	v_lshrrev_b32_e32 v92, 17, v81
	s_delay_alu instid0(VALU_DEP_1) | instskip(NEXT) | instid1(VALU_DEP_1)
	v_mul_lo_u16 v81, v92, 28
	v_sub_nc_u16 v80, v80, v81
	s_delay_alu instid0(VALU_DEP_1) | instskip(NEXT) | instid1(VALU_DEP_1)
	v_and_b32_e32 v80, 0xffff, v80
	v_lshlrev_b32_e32 v93, 4, v80
	global_load_b128 v[80:83], v93, s[8:9] offset:384
	global_wb scope:SCOPE_SE
	s_wait_loadcnt_dscnt 0x0
	s_barrier_signal -1
	s_barrier_wait -1
	global_inv scope:SCOPE_SE
	v_mul_f64_e32 v[86:87], v[78:79], v[82:83]
	s_delay_alu instid0(VALU_DEP_1) | instskip(SKIP_4) | instid1(VALU_DEP_1)
	v_fma_f64 v[86:87], v[76:77], v[80:81], -v[86:87]
	v_mul_f64_e32 v[76:77], v[76:77], v[82:83]
	s_wait_alu 0xf1ff
	v_cndmask_b32_e64 v82, 0, 0x380, s1
	v_lshlrev_b32_e32 v83, 4, v147
	v_add3_u32 v82, 0, v82, v83
	s_delay_alu instid0(VALU_DEP_4) | instskip(SKIP_2) | instid1(VALU_DEP_2)
	v_fma_f64 v[80:81], v[78:79], v[80:81], v[76:77]
	v_add_f64_e64 v[76:77], v[72:73], -v[144:145]
	v_add_f64_e64 v[78:79], v[74:75], -v[142:143]
	v_fma_f64 v[72:73], v[72:73], 2.0, -v[76:77]
	s_delay_alu instid0(VALU_DEP_2)
	v_fma_f64 v[74:75], v[74:75], 2.0, -v[78:79]
	ds_store_b128 v82, v[76:79] offset:448
	ds_store_b128 v82, v[72:75]
	v_add_f64_e64 v[72:73], v[68:69], -v[140:141]
	v_add_f64_e64 v[74:75], v[70:71], -v[136:137]
	v_and_b32_e32 v76, 0xffff, v146
	s_delay_alu instid0(VALU_DEP_1) | instskip(NEXT) | instid1(VALU_DEP_1)
	v_mul_u32_u24_e32 v76, 0x380, v76
	v_add3_u32 v76, 0, v76, v149
	v_lshlrev_b32_e32 v149, 2, v191
	v_fma_f64 v[68:69], v[68:69], 2.0, -v[72:73]
	v_fma_f64 v[70:71], v[70:71], 2.0, -v[74:75]
	ds_store_b128 v76, v[72:75] offset:448
	ds_store_b128 v76, v[68:71]
	v_add_f64_e64 v[68:69], v[64:65], -v[138:139]
	v_add_f64_e64 v[70:71], v[66:67], -v[134:135]
	v_and_b32_e32 v72, 0xffff, v152
	v_lshlrev_b32_e32 v152, 2, v229
	s_delay_alu instid0(VALU_DEP_2) | instskip(NEXT) | instid1(VALU_DEP_1)
	v_mul_u32_u24_e32 v72, 0x380, v72
	v_add3_u32 v72, 0, v72, v153
	v_lshlrev_b32_e32 v153, 2, v255
	v_fma_f64 v[64:65], v[64:65], 2.0, -v[68:69]
	v_fma_f64 v[66:67], v[66:67], 2.0, -v[70:71]
	ds_store_b128 v72, v[64:67]
	ds_store_b128 v72, v[68:71] offset:448
	v_add_f64_e64 v[64:65], v[60:61], -v[132:133]
	v_add_f64_e64 v[66:67], v[62:63], -v[128:129]
	v_and_b32_e32 v68, 0xffff, v150
	v_lshlrev_b32_e32 v150, 2, v192
	s_delay_alu instid0(VALU_DEP_2) | instskip(NEXT) | instid1(VALU_DEP_1)
	v_mul_u32_u24_e32 v68, 0x380, v68
	v_add3_u32 v68, 0, v68, v151
	v_lshlrev_b32_e32 v151, 2, v169
	v_fma_f64 v[60:61], v[60:61], 2.0, -v[64:65]
	v_fma_f64 v[62:63], v[62:63], 2.0, -v[66:67]
	ds_store_b128 v68, v[60:63]
	ds_store_b128 v68, v[64:67] offset:448
	v_add_f64_e64 v[60:61], v[56:57], -v[130:131]
	v_add_f64_e64 v[62:63], v[58:59], -v[124:125]
	v_mul_u32_u24_e32 v64, 0x380, v155
	v_lshlrev_b32_e32 v155, 2, v190
	s_delay_alu instid0(VALU_DEP_2)
	v_add3_u32 v64, 0, v64, v157
	v_fma_f64 v[56:57], v[56:57], 2.0, -v[60:61]
	v_fma_f64 v[58:59], v[58:59], 2.0, -v[62:63]
	ds_store_b128 v64, v[56:59]
	ds_store_b128 v64, v[60:63] offset:448
	v_add_f64_e64 v[56:57], v[52:53], -v[126:127]
	v_add_f64_e64 v[58:59], v[54:55], -v[120:121]
	v_mul_u32_u24_e32 v60, 0x380, v154
	v_lshlrev_b32_e32 v154, 2, v176
	s_delay_alu instid0(VALU_DEP_2)
	v_add3_u32 v60, 0, v60, v156
	v_fma_f64 v[52:53], v[52:53], 2.0, -v[56:57]
	v_fma_f64 v[54:55], v[54:55], 2.0, -v[58:59]
	ds_store_b128 v60, v[52:55]
	ds_store_b128 v60, v[56:59] offset:448
	v_add_f64_e64 v[52:53], v[48:49], -v[122:123]
	v_add_f64_e64 v[54:55], v[50:51], -v[158:159]
	v_mul_u32_u24_e32 v56, 0x380, v167
	s_delay_alu instid0(VALU_DEP_1) | instskip(NEXT) | instid1(VALU_DEP_4)
	v_add3_u32 v56, 0, v56, v168
	v_fma_f64 v[48:49], v[48:49], 2.0, -v[52:53]
	s_delay_alu instid0(VALU_DEP_4)
	v_fma_f64 v[50:51], v[50:51], 2.0, -v[54:55]
	ds_store_b128 v56, v[48:51]
	ds_store_b128 v56, v[52:55] offset:448
	v_add_f64_e64 v[48:49], v[44:45], -v[160:161]
	v_add_f64_e64 v[50:51], v[46:47], -v[162:163]
	v_mul_u32_u24_e32 v52, 0x380, v166
	s_delay_alu instid0(VALU_DEP_1) | instskip(NEXT) | instid1(VALU_DEP_4)
	v_add3_u32 v52, 0, v52, v172
	v_fma_f64 v[44:45], v[44:45], 2.0, -v[48:49]
	s_delay_alu instid0(VALU_DEP_4)
	;; [unrolled: 10-line block ×4, first 2 shown]
	v_fma_f64 v[38:39], v[38:39], 2.0, -v[42:43]
	ds_store_b128 v44, v[40:43] offset:448
	ds_store_b128 v44, v[36:39]
	v_add_f64_e64 v[36:37], v[32:33], -v[118:119]
	v_add_f64_e64 v[38:39], v[34:35], -v[104:105]
	v_mul_u32_u24_e32 v40, 0x380, v178
	s_delay_alu instid0(VALU_DEP_1) | instskip(NEXT) | instid1(VALU_DEP_4)
	v_add3_u32 v40, 0, v40, v180
	v_fma_f64 v[32:33], v[32:33], 2.0, -v[36:37]
	s_delay_alu instid0(VALU_DEP_4)
	v_fma_f64 v[34:35], v[34:35], 2.0, -v[38:39]
	ds_store_b128 v40, v[32:35]
	ds_store_b128 v40, v[36:39] offset:448
	v_add_f64_e64 v[32:33], v[28:29], -v[106:107]
	v_add_f64_e64 v[34:35], v[30:31], -v[108:109]
	v_mul_u32_u24_e32 v36, 0x380, v179
	s_delay_alu instid0(VALU_DEP_1) | instskip(NEXT) | instid1(VALU_DEP_4)
	v_add3_u32 v36, 0, v36, v181
	v_fma_f64 v[28:29], v[28:29], 2.0, -v[32:33]
	s_delay_alu instid0(VALU_DEP_4)
	v_fma_f64 v[30:31], v[30:31], 2.0, -v[34:35]
	ds_store_b128 v36, v[28:31]
	ds_store_b128 v36, v[32:35] offset:448
	v_add_f64_e64 v[28:29], v[24:25], -v[110:111]
	v_add_f64_e64 v[30:31], v[26:27], -v[96:97]
	v_mul_u32_u24_e32 v32, 0x380, v182
	v_mul_u32_u24_e32 v33, 0x380, v187
	;; [unrolled: 1-line block ×3, first 2 shown]
	s_delay_alu instid0(VALU_DEP_3)
	v_add3_u32 v32, 0, v32, v184
	v_fma_f64 v[24:25], v[24:25], 2.0, -v[28:29]
	v_fma_f64 v[26:27], v[26:27], 2.0, -v[30:31]
	ds_store_b128 v32, v[24:27]
	ds_store_b128 v32, v[28:31] offset:448
	v_add_f64_e64 v[24:25], v[20:21], -v[98:99]
	v_add_f64_e64 v[26:27], v[22:23], -v[100:101]
	v_mul_u32_u24_e32 v28, 0x380, v183
	v_add_f64_e64 v[30:31], v[18:19], -v[80:81]
	v_mul_u32_u24_e32 v32, 0x380, v186
	s_delay_alu instid0(VALU_DEP_3) | instskip(NEXT) | instid1(VALU_DEP_2)
	v_add3_u32 v28, 0, v28, v185
	v_add3_u32 v32, 0, v32, v188
	v_fma_f64 v[20:21], v[20:21], 2.0, -v[24:25]
	v_fma_f64 v[22:23], v[22:23], 2.0, -v[26:27]
	ds_store_b128 v28, v[20:23]
	ds_store_b128 v28, v[24:27] offset:448
	v_add_f64_e64 v[20:21], v[12:13], -v[102:103]
	v_add_f64_e64 v[22:23], v[14:15], -v[88:89]
	;; [unrolled: 1-line block ×5, first 2 shown]
	v_fma_f64 v[18:19], v[18:19], 2.0, -v[30:31]
	v_fma_f64 v[12:13], v[12:13], 2.0, -v[20:21]
	;; [unrolled: 1-line block ×6, first 2 shown]
	ds_store_b128 v32, v[12:15]
	v_add3_u32 v12, 0, v33, v189
	v_add3_u32 v13, 0, v34, v93
	ds_store_b128 v32, v[20:23] offset:448
	ds_store_b128 v12, v[8:11]
	ds_store_b128 v12, v[24:27] offset:448
	ds_store_b128 v13, v[16:19]
	ds_store_b128 v13, v[28:31] offset:448
	s_and_saveexec_b32 s1, s0
	s_cbranch_execz .LBB0_27
; %bb.26:
	v_add_nc_u16 v8, v190, 0x3b8
	s_delay_alu instid0(VALU_DEP_1) | instskip(NEXT) | instid1(VALU_DEP_1)
	v_lshrrev_b16 v9, 2, v8
	v_and_b32_e32 v9, 0xffff, v9
	s_delay_alu instid0(VALU_DEP_1) | instskip(NEXT) | instid1(VALU_DEP_1)
	v_mul_u32_u24_e32 v9, 0x4925, v9
	v_lshrrev_b32_e32 v9, 17, v9
	s_delay_alu instid0(VALU_DEP_1) | instskip(NEXT) | instid1(VALU_DEP_1)
	v_mul_lo_u16 v9, v9, 28
	v_sub_nc_u16 v8, v8, v9
	s_delay_alu instid0(VALU_DEP_1) | instskip(NEXT) | instid1(VALU_DEP_1)
	v_and_b32_e32 v8, 0xffff, v8
	v_lshlrev_b32_e32 v14, 4, v8
	global_load_b128 v[8:11], v14, s[8:9] offset:384
	s_wait_loadcnt 0x0
	v_mul_f64_e32 v[12:13], v[0:1], v[10:11]
	v_mul_f64_e32 v[10:11], v[2:3], v[10:11]
	s_delay_alu instid0(VALU_DEP_2) | instskip(NEXT) | instid1(VALU_DEP_2)
	v_fma_f64 v[2:3], v[2:3], v[8:9], v[12:13]
	v_fma_f64 v[0:1], v[0:1], v[8:9], -v[10:11]
	v_add_nc_u32_e32 v8, 0, v14
	s_delay_alu instid0(VALU_DEP_3) | instskip(NEXT) | instid1(VALU_DEP_3)
	v_add_f64_e64 v[2:3], v[6:7], -v[2:3]
	v_add_f64_e64 v[0:1], v[4:5], -v[0:1]
	s_delay_alu instid0(VALU_DEP_2) | instskip(NEXT) | instid1(VALU_DEP_2)
	v_fma_f64 v[6:7], v[6:7], 2.0, -v[2:3]
	v_fma_f64 v[4:5], v[4:5], 2.0, -v[0:1]
	ds_store_b128 v8, v[4:7] offset:30464
	ds_store_b128 v8, v[0:3] offset:30912
.LBB0_27:
	s_wait_alu 0xfffe
	s_or_b32 exec_lo, exec_lo, s1
	v_lshrrev_b16 v1, 3, v255
	v_mul_u32_u24_e32 v0, 6, v190
	global_wb scope:SCOPE_SE
	s_wait_dscnt 0x0
	s_barrier_signal -1
	s_barrier_wait -1
	v_and_b32_e32 v1, 31, v1
	v_lshlrev_b32_e32 v0, 4, v0
	global_inv scope:SCOPE_SE
	v_lshrrev_b16 v2, 3, v169
	s_mov_b32 s18, 0x37e14327
	v_mul_lo_u16 v1, v1, 37
	s_clause 0x5
	global_load_b128 v[96:99], v0, s[8:9] offset:832
	global_load_b128 v[100:103], v0, s[8:9] offset:848
	global_load_b128 v[104:107], v0, s[8:9] offset:864
	global_load_b128 v[108:111], v0, s[8:9] offset:880
	global_load_b128 v[120:123], v0, s[8:9] offset:896
	global_load_b128 v[128:131], v0, s[8:9] offset:912
	v_lshrrev_b16 v1, 8, v1
	s_mov_b32 s10, 0x36b3c0b5
	s_mov_b32 s20, 0xe976ee23
	;; [unrolled: 1-line block ×4, first 2 shown]
	v_mul_lo_u16 v1, v1, 56
	s_mov_b32 s11, 0x3fac98ee
	s_mov_b32 s21, 0xbfe11646
	;; [unrolled: 1-line block ×4, first 2 shown]
	v_sub_nc_u16 v1, v255, v1
	s_mov_b32 s26, 0xb247c609
	s_mov_b32 s15, 0x3fe77f67
	s_mov_b32 s17, 0xbfe77f67
	s_mov_b32 s27, 0x3fd5d0dc
	v_and_b32_e32 v167, 0xff, v1
	v_lshrrev_b16 v1, 3, v229
	s_mov_b32 s25, 0xbfd5d0dc
	s_wait_alu 0xfffe
	s_mov_b32 s16, s14
	s_mov_b32 s24, s26
	v_mul_u32_u24_e32 v0, 6, v167
	v_and_b32_e32 v1, 31, v1
	s_mov_b32 s4, 0xaaaaaaaa
	s_mov_b32 s5, 0xbff2aaaa
	v_lshl_add_u32 v167, v167, 4, 0
	v_lshlrev_b32_e32 v0, 4, v0
	v_mul_lo_u16 v1, v1, 37
	s_clause 0x1
	global_load_b128 v[224:227], v0, s[8:9] offset:832
	global_load_b128 v[232:235], v0, s[8:9] offset:848
	v_lshrrev_b16 v1, 8, v1
	s_clause 0x3
	global_load_b128 v[24:27], v0, s[8:9] offset:864
	global_load_b128 v[20:23], v0, s[8:9] offset:880
	;; [unrolled: 1-line block ×4, first 2 shown]
	v_mul_lo_u16 v1, v1, 56
	s_delay_alu instid0(VALU_DEP_1) | instskip(NEXT) | instid1(VALU_DEP_1)
	v_sub_nc_u16 v1, v229, v1
	v_and_b32_e32 v231, 0xff, v1
	v_and_b32_e32 v1, 0xffff, v2
	s_delay_alu instid0(VALU_DEP_2) | instskip(NEXT) | instid1(VALU_DEP_2)
	v_mul_u32_u24_e32 v2, 6, v231
	v_mul_u32_u24_e32 v1, 0x2493, v1
	v_lshl_add_u32 v168, v231, 4, 0
	s_delay_alu instid0(VALU_DEP_3) | instskip(NEXT) | instid1(VALU_DEP_3)
	v_lshlrev_b32_e32 v2, 4, v2
	v_lshrrev_b32_e32 v0, 16, v1
	global_load_b128 v[64:67], v2, s[8:9] offset:832
	v_mul_lo_u16 v0, v0, 56
	s_clause 0x3
	global_load_b128 v[44:47], v2, s[8:9] offset:848
	global_load_b128 v[40:43], v2, s[8:9] offset:864
	;; [unrolled: 1-line block ×4, first 2 shown]
	v_sub_nc_u16 v0, v169, v0
	s_delay_alu instid0(VALU_DEP_1) | instskip(NEXT) | instid1(VALU_DEP_1)
	v_and_b32_e32 v169, 0xffff, v0
	v_mul_u32_u24_e32 v0, 6, v169
	v_lshl_add_u32 v169, v169, 4, 0
	s_delay_alu instid0(VALU_DEP_2)
	v_lshlrev_b32_e32 v0, 4, v0
	s_clause 0x6
	global_load_b128 v[28:31], v2, s[8:9] offset:912
	global_load_b128 v[60:63], v0, s[8:9] offset:832
	;; [unrolled: 1-line block ×7, first 2 shown]
	ds_load_b128 v[4:7], v230 offset:4480
	ds_load_b128 v[12:15], v230 offset:8960
	;; [unrolled: 1-line block ×17, first 2 shown]
	ds_load_b128 v[16:19], v230
	ds_load_b128 v[8:11], v230 offset:896
	ds_load_b128 v[240:243], v230 offset:10752
	;; [unrolled: 1-line block ×3, first 2 shown]
	s_wait_loadcnt_dscnt 0x1714
	v_mul_f64_e32 v[144:145], v[6:7], v[98:99]
	v_mul_f64_e32 v[146:147], v[4:5], v[98:99]
	s_wait_loadcnt_dscnt 0x1613
	v_mul_f64_e32 v[156:157], v[14:15], v[102:103]
	v_mul_f64_e32 v[159:160], v[12:13], v[102:103]
	;; [unrolled: 3-line block ×4, first 2 shown]
	s_wait_dscnt 0x10
	v_mul_f64_e32 v[184:185], v[134:135], v[98:99]
	v_mul_f64_e32 v[98:99], v[132:133], v[98:99]
	s_wait_loadcnt_dscnt 0x130f
	v_mul_f64_e32 v[186:187], v[138:139], v[122:123]
	v_mul_f64_e32 v[198:199], v[136:137], v[122:123]
	s_wait_dscnt 0xe
	v_mul_f64_e32 v[208:209], v[142:143], v[102:103]
	v_mul_f64_e32 v[102:103], v[140:141], v[102:103]
	s_wait_dscnt 0xd
	v_mul_f64_e32 v[210:211], v[190:191], v[106:107]
	v_mul_f64_e32 v[106:107], v[188:189], v[106:107]
	s_wait_dscnt 0xb
	v_mul_f64_e32 v[212:213], v[194:195], v[110:111]
	s_wait_loadcnt_dscnt 0x1207
	v_mul_f64_e32 v[228:229], v[206:207], v[130:131]
	v_mul_f64_e32 v[244:245], v[204:205], v[130:131]
	v_mul_f64_e32 v[214:215], v[202:203], v[122:123]
	s_wait_dscnt 0x6
	v_mul_f64_e32 v[246:247], v[220:221], v[130:131]
	v_mul_f64_e32 v[130:131], v[218:219], v[130:131]
	v_mul_f64_e32 v[110:111], v[192:193], v[110:111]
	v_mul_f64_e32 v[122:123], v[200:201], v[122:123]
	s_wait_loadcnt 0x11
	v_mul_f64_e32 v[248:249], v[238:239], v[226:227]
	v_mul_f64_e32 v[226:227], v[236:237], v[226:227]
	v_fma_f64 v[165:166], v[4:5], v[96:97], -v[144:145]
	v_fma_f64 v[174:175], v[6:7], v[96:97], v[146:147]
	v_fma_f64 v[157:158], v[12:13], v[100:101], -v[156:157]
	v_fma_f64 v[159:160], v[14:15], v[100:101], v[159:160]
	ds_load_b128 v[12:15], v230 offset:1792
	ds_load_b128 v[4:7], v230 offset:2688
	v_fma_f64 v[161:162], v[92:93], v[104:105], -v[161:162]
	v_fma_f64 v[163:164], v[94:95], v[104:105], v[163:164]
	v_fma_f64 v[180:181], v[124:125], v[108:109], -v[176:177]
	v_fma_f64 v[182:183], v[126:127], v[108:109], v[178:179]
	ds_load_b128 v[92:95], v230 offset:11648
	v_fma_f64 v[176:177], v[132:133], v[96:97], -v[184:185]
	v_fma_f64 v[178:179], v[134:135], v[96:97], v[98:99]
	ds_load_b128 v[144:147], v230 offset:19712
	ds_load_b128 v[96:99], v230 offset:20608
	v_fma_f64 v[196:197], v[136:137], v[120:121], -v[186:187]
	v_fma_f64 v[198:199], v[138:139], v[120:121], v[198:199]
	v_fma_f64 v[184:185], v[140:141], v[100:101], -v[208:209]
	v_fma_f64 v[186:187], v[142:143], v[100:101], v[102:103]
	ds_load_b128 v[140:143], v230 offset:28672
	ds_load_b128 v[100:103], v230 offset:29568
	v_fma_f64 v[188:189], v[188:189], v[104:105], -v[210:211]
	v_fma_f64 v[190:191], v[190:191], v[104:105], v[106:107]
	ds_load_b128 v[136:139], v230 offset:7168
	ds_load_b128 v[104:107], v230 offset:8064
	s_wait_loadcnt_dscnt 0x100a
	v_mul_f64_e32 v[250:251], v[242:243], v[234:235]
	v_mul_f64_e32 v[234:235], v[240:241], v[234:235]
	v_fma_f64 v[192:193], v[192:193], v[108:109], -v[212:213]
	s_wait_loadcnt 0xf
	v_mul_f64_e32 v[216:217], v[118:119], v[26:27]
	v_mul_f64_e32 v[222:223], v[116:117], v[26:27]
	v_fma_f64 v[200:201], v[200:201], v[120:121], -v[214:215]
	v_fma_f64 v[208:209], v[204:205], v[128:129], -v[228:229]
	v_fma_f64 v[210:211], v[206:207], v[128:129], v[244:245]
	v_fma_f64 v[204:205], v[218:219], v[128:129], -v[246:247]
	v_fma_f64 v[206:207], v[220:221], v[128:129], v[130:131]
	s_wait_loadcnt_dscnt 0xe05
	v_mul_f64_e32 v[212:213], v[146:147], v[22:23]
	v_mul_f64_e32 v[214:215], v[144:145], v[22:23]
	s_wait_loadcnt 0xd
	v_mul_f64_e32 v[218:219], v[114:115], v[74:75]
	v_mul_f64_e32 v[220:221], v[112:113], v[74:75]
	v_fma_f64 v[194:195], v[194:195], v[108:109], v[110:111]
	v_fma_f64 v[22:23], v[236:237], v[224:225], -v[248:249]
	v_fma_f64 v[26:27], v[238:239], v[224:225], v[226:227]
	s_wait_loadcnt_dscnt 0xc03
	v_mul_f64_e32 v[224:225], v[142:143], v[70:71]
	v_mul_f64_e32 v[226:227], v[140:141], v[70:71]
	s_wait_loadcnt_dscnt 0xb01
	v_mul_f64_e32 v[228:229], v[138:139], v[66:67]
	v_mul_f64_e32 v[66:67], v[136:137], v[66:67]
	ds_load_b128 v[124:127], v230 offset:16128
	ds_load_b128 v[108:111], v230 offset:17024
	v_fma_f64 v[202:203], v[202:203], v[120:121], v[122:123]
	ds_load_b128 v[132:135], v230 offset:25088
	ds_load_b128 v[120:123], v230 offset:25984
	;; [unrolled: 1-line block ×3, first 2 shown]
	v_mov_b32_e32 v156, v148
	global_wb scope:SCOPE_SE
	s_wait_loadcnt_dscnt 0x0
	s_barrier_signal -1
	s_barrier_wait -1
	global_inv scope:SCOPE_SE
	v_fma_f64 v[70:71], v[240:241], v[232:233], -v[250:251]
	v_fma_f64 v[74:75], v[242:243], v[232:233], v[234:235]
	v_mul_f64_e32 v[232:233], v[94:95], v[46:47]
	v_mul_f64_e32 v[46:47], v[92:93], v[46:47]
	;; [unrolled: 1-line block ×3, first 2 shown]
	v_fma_f64 v[116:117], v[116:117], v[24:25], -v[216:217]
	v_fma_f64 v[24:25], v[118:119], v[24:25], v[222:223]
	v_mul_f64_e32 v[42:43], v[124:125], v[42:43]
	v_mul_f64_e32 v[118:119], v[98:99], v[38:39]
	;; [unrolled: 1-line block ×4, first 2 shown]
	v_fma_f64 v[144:145], v[144:145], v[20:21], -v[212:213]
	v_mul_f64_e32 v[34:35], v[132:133], v[34:35]
	v_mul_f64_e32 v[212:213], v[102:103], v[30:31]
	;; [unrolled: 1-line block ×3, first 2 shown]
	v_fma_f64 v[146:147], v[146:147], v[20:21], v[214:215]
	v_mul_f64_e32 v[214:215], v[106:107], v[62:63]
	v_fma_f64 v[112:113], v[112:113], v[72:73], -v[218:219]
	v_fma_f64 v[72:73], v[114:115], v[72:73], v[220:221]
	v_mul_f64_e32 v[62:63], v[104:105], v[62:63]
	v_mul_f64_e32 v[114:115], v[86:87], v[58:59]
	v_mul_f64_e32 v[58:59], v[84:85], v[58:59]
	v_mul_f64_e32 v[218:219], v[110:111], v[54:55]
	v_fma_f64 v[140:141], v[140:141], v[68:69], -v[224:225]
	v_fma_f64 v[68:69], v[142:143], v[68:69], v[226:227]
	v_mul_f64_e32 v[54:55], v[108:109], v[54:55]
	v_mul_f64_e32 v[142:143], v[90:91], v[50:51]
	v_mul_f64_e32 v[50:51], v[88:89], v[50:51]
	;; [unrolled: 6-line block ×3, first 2 shown]
	v_lshlrev_b64_e32 v[20:21], 4, v[155:156]
	v_fma_f64 v[92:93], v[92:93], v[44:45], -v[232:233]
	v_fma_f64 v[44:45], v[94:95], v[44:45], v[46:47]
	v_fma_f64 v[46:47], v[124:125], v[40:41], -v[234:235]
	v_add_f64_e64 v[94:95], v[157:158], -v[196:197]
	v_add_f64_e64 v[124:125], v[186:187], -v[202:203]
	v_fma_f64 v[40:41], v[126:127], v[40:41], v[42:43]
	v_fma_f64 v[42:43], v[96:97], v[36:37], -v[118:119]
	v_fma_f64 v[36:37], v[98:99], v[36:37], v[38:39]
	v_fma_f64 v[38:39], v[132:133], v[32:33], -v[216:217]
	v_add_f64_e32 v[118:119], v[184:185], v[200:201]
	v_fma_f64 v[32:33], v[134:135], v[32:33], v[34:35]
	v_fma_f64 v[34:35], v[100:101], v[28:29], -v[212:213]
	v_fma_f64 v[28:29], v[102:103], v[28:29], v[30:31]
	v_add_f64_e64 v[96:97], v[159:160], -v[198:199]
	v_fma_f64 v[30:31], v[104:105], v[60:61], -v[214:215]
	v_add_f64_e32 v[98:99], v[161:162], v[180:181]
	v_add_f64_e32 v[100:101], v[163:164], v[182:183]
	v_fma_f64 v[60:61], v[106:107], v[60:61], v[62:63]
	v_fma_f64 v[62:63], v[84:85], v[56:57], -v[114:115]
	v_fma_f64 v[56:57], v[86:87], v[56:57], v[58:59]
	v_fma_f64 v[58:59], v[108:109], v[52:53], -v[218:219]
	v_add_f64_e32 v[106:107], v[176:177], v[204:205]
	v_add_f64_e32 v[108:109], v[178:179], v[206:207]
	v_fma_f64 v[52:53], v[110:111], v[52:53], v[54:55]
	v_fma_f64 v[54:55], v[88:89], v[48:49], -v[142:143]
	v_fma_f64 v[48:49], v[90:91], v[48:49], v[50:51]
	;; [unrolled: 6-line block ×3, first 2 shown]
	v_add_f64_e32 v[78:79], v[165:166], v[208:209]
	v_add_f64_e32 v[82:83], v[174:175], v[210:211]
	;; [unrolled: 1-line block ×5, first 2 shown]
	v_add_f64_e64 v[22:23], v[22:23], -v[140:141]
	v_add_f64_e64 v[26:27], v[26:27], -v[68:69]
	v_add_f64_e32 v[68:69], v[70:71], v[112:113]
	v_add_f64_e32 v[140:141], v[74:75], v[72:73]
	v_add_f64_e64 v[72:73], v[74:75], -v[72:73]
	v_add_f64_e32 v[74:75], v[116:117], v[144:145]
	v_add_f64_e64 v[116:117], v[144:145], -v[116:117]
	v_add_f64_e64 v[84:85], v[165:166], -v[208:209]
	;; [unrolled: 1-line block ×6, first 2 shown]
	v_add_f64_e32 v[142:143], v[136:137], v[34:35]
	v_add_f64_e32 v[144:145], v[64:65], v[28:29]
	v_add_f64_e64 v[34:35], v[136:137], -v[34:35]
	v_add_f64_e64 v[28:29], v[64:65], -v[28:29]
	v_add_f64_e32 v[64:65], v[92:93], v[38:39]
	v_add_f64_e32 v[136:137], v[44:45], v[32:33]
	;; [unrolled: 1-line block ×4, first 2 shown]
	v_add_f64_e64 v[130:131], v[192:193], -v[188:189]
	v_add_f64_e64 v[70:71], v[70:71], -v[112:113]
	v_add_f64_e32 v[112:113], v[24:25], v[146:147]
	v_add_f64_e64 v[24:25], v[146:147], -v[24:25]
	v_add_f64_e64 v[38:39], v[92:93], -v[38:39]
	;; [unrolled: 1-line block ×3, first 2 shown]
	v_add_f64_e32 v[44:45], v[46:47], v[42:43]
	v_add_f64_e32 v[92:93], v[40:41], v[36:37]
	v_add_f64_e64 v[42:43], v[42:43], -v[46:47]
	v_add_f64_e64 v[36:37], v[36:37], -v[40:41]
	;; [unrolled: 1-line block ×3, first 2 shown]
	v_add_f64_e32 v[40:41], v[30:31], v[80:81]
	v_add_f64_e32 v[46:47], v[60:61], v[76:77]
	v_add_f64_e64 v[30:31], v[30:31], -v[80:81]
	v_add_f64_e64 v[60:61], v[60:61], -v[76:77]
	v_add_f64_e32 v[76:77], v[62:63], v[50:51]
	v_add_f64_e32 v[80:81], v[56:57], v[66:67]
	v_add_f64_e64 v[50:51], v[62:63], -v[50:51]
	v_add_f64_e64 v[56:57], v[56:57], -v[66:67]
	;; [unrolled: 4-line block ×4, first 2 shown]
	v_add_f64_e32 v[165:166], v[118:119], v[106:107]
	v_add_f64_e32 v[174:175], v[120:121], v[108:109]
	;; [unrolled: 1-line block ×4, first 2 shown]
	v_add_f64_e64 v[146:147], v[88:89], -v[78:79]
	v_add_f64_e64 v[155:156], v[90:91], -v[82:83]
	v_add_f64_e64 v[78:79], v[78:79], -v[98:99]
	v_add_f64_e32 v[204:205], v[64:65], v[142:143]
	v_add_f64_e32 v[206:207], v[136:137], v[144:145]
	v_add_f64_e64 v[82:83], v[82:83], -v[100:101]
	v_add_f64_e64 v[88:89], v[98:99], -v[88:89]
	;; [unrolled: 1-line block ×3, first 2 shown]
	v_add_f64_e32 v[157:158], v[102:103], v[94:95]
	v_add_f64_e32 v[159:160], v[104:105], v[96:97]
	v_add_f64_e64 v[161:162], v[102:103], -v[94:95]
	v_add_f64_e64 v[163:164], v[104:105], -v[96:97]
	;; [unrolled: 1-line block ×9, first 2 shown]
	v_add_f64_e32 v[180:181], v[130:131], v[122:123]
	v_add_f64_e64 v[184:185], v[130:131], -v[122:123]
	v_add_f64_e64 v[122:123], v[122:123], -v[110:111]
	v_add_f64_e32 v[196:197], v[116:117], v[70:71]
	v_add_f64_e32 v[198:199], v[24:25], v[72:73]
	v_add_f64_e64 v[200:201], v[116:117], -v[70:71]
	v_add_f64_e64 v[202:203], v[24:25], -v[72:73]
	;; [unrolled: 1-line block ×4, first 2 shown]
	v_add_f64_e32 v[220:221], v[76:77], v[40:41]
	v_add_f64_e32 v[222:223], v[80:81], v[46:47]
	;; [unrolled: 1-line block ×4, first 2 shown]
	v_add_f64_e64 v[96:97], v[96:97], -v[86:87]
	v_add_f64_e32 v[182:183], v[132:133], v[124:125]
	v_add_f64_e64 v[186:187], v[132:133], -v[124:125]
	v_add_f64_e64 v[124:125], v[124:125], -v[114:115]
	v_add_f64_e32 v[212:213], v[42:43], v[38:39]
	v_add_f64_e32 v[214:215], v[36:37], v[32:33]
	v_add_f64_e64 v[216:217], v[42:43], -v[38:39]
	v_add_f64_e64 v[218:219], v[36:37], -v[32:33]
	v_add_f64_e32 v[126:127], v[126:127], v[165:166]
	v_add_f64_e32 v[128:129], v[128:129], v[174:175]
	v_add_f64_e64 v[192:193], v[68:69], -v[134:135]
	v_add_f64_e64 v[194:195], v[140:141], -v[138:139]
	v_add_f64_e64 v[134:135], v[134:135], -v[74:75]
	v_add_f64_e64 v[138:139], v[138:139], -v[112:113]
	v_add_f64_e64 v[68:69], v[74:75], -v[68:69]
	v_add_f64_e64 v[140:141], v[112:113], -v[140:141]
	v_add_f64_e32 v[74:75], v[74:75], v[188:189]
	v_add_f64_e32 v[112:113], v[112:113], v[190:191]
	v_add_f64_e64 v[208:209], v[64:65], -v[142:143]
	v_add_f64_e64 v[210:211], v[136:137], -v[144:145]
	v_add_f64_e64 v[142:143], v[142:143], -v[44:45]
	v_add_f64_e64 v[144:145], v[144:145], -v[92:93]
	;; [unrolled: 8-line block ×3, first 2 shown]
	v_add_f64_e64 v[130:131], v[110:111], -v[130:131]
	v_add_f64_e64 v[116:117], v[22:23], -v[116:117]
	;; [unrolled: 1-line block ×9, first 2 shown]
	v_add_f64_e32 v[228:229], v[54:55], v[50:51]
	v_add_f64_e32 v[231:232], v[48:49], v[56:57]
	v_add_f64_e64 v[233:234], v[54:55], -v[50:51]
	v_add_f64_e64 v[235:236], v[48:49], -v[56:57]
	v_add_f64_e32 v[84:85], v[157:158], v[84:85]
	v_add_f64_e32 v[86:87], v[159:160], v[86:87]
	v_mul_f64_e32 v[78:79], s[18:19], v[78:79]
	v_mul_f64_e32 v[82:83], s[18:19], v[82:83]
	;; [unrolled: 1-line block ×7, first 2 shown]
	v_add_f64_e32 v[110:111], v[180:181], v[110:111]
	v_mul_f64_e32 v[106:107], s[18:19], v[106:107]
	v_mul_f64_e32 v[108:109], s[18:19], v[108:109]
	;; [unrolled: 1-line block ×6, first 2 shown]
	v_add_f64_e32 v[22:23], v[196:197], v[22:23]
	v_add_f64_e32 v[26:27], v[198:199], v[26:27]
	v_mul_f64_e32 v[196:197], s[20:21], v[200:201]
	v_mul_f64_e32 v[198:199], s[20:21], v[202:203]
	;; [unrolled: 1-line block ×4, first 2 shown]
	v_add_f64_e32 v[62:63], v[62:63], v[220:221]
	v_add_f64_e32 v[66:67], v[66:67], v[222:223]
	v_add_f64_e64 v[50:51], v[50:51], -v[30:31]
	v_add_f64_e64 v[56:57], v[56:57], -v[60:61]
	v_add_f64_e32 v[16:17], v[16:17], v[52:53]
	v_add_f64_e32 v[18:19], v[18:19], v[58:59]
	v_add_f64_e64 v[132:133], v[114:115], -v[132:133]
	v_add_f64_e64 v[42:43], v[34:35], -v[42:43]
	;; [unrolled: 1-line block ×3, first 2 shown]
	v_mul_f64_e32 v[163:164], s[12:13], v[96:97]
	v_add_f64_e32 v[114:115], v[182:183], v[114:115]
	v_mul_f64_e32 v[182:183], s[20:21], v[186:187]
	v_mul_f64_e32 v[186:187], s[12:13], v[124:125]
	v_add_f64_e32 v[34:35], v[212:213], v[34:35]
	v_add_f64_e32 v[28:29], v[214:215], v[28:29]
	v_mul_f64_e32 v[212:213], s[20:21], v[216:217]
	v_mul_f64_e32 v[214:215], s[20:21], v[218:219]
	v_add_f64_e32 v[8:9], v[8:9], v[126:127]
	;; [unrolled: 4-line block ×3, first 2 shown]
	v_add_f64_e32 v[14:15], v[14:15], v[112:113]
	v_mul_f64_e32 v[190:191], s[10:11], v[140:141]
	v_mul_f64_e32 v[188:189], s[10:11], v[68:69]
	;; [unrolled: 1-line block ×4, first 2 shown]
	v_add_f64_e32 v[4:5], v[4:5], v[44:45]
	v_add_f64_e32 v[6:7], v[6:7], v[92:93]
	v_mul_f64_e32 v[216:217], s[12:13], v[38:39]
	v_mul_f64_e32 v[218:219], s[12:13], v[32:33]
	;; [unrolled: 1-line block ×4, first 2 shown]
	v_add_f64_e64 v[54:55], v[30:31], -v[54:55]
	v_add_f64_e64 v[48:49], v[60:61], -v[48:49]
	v_add_f64_e32 v[30:31], v[228:229], v[30:31]
	v_add_f64_e32 v[60:61], v[231:232], v[60:61]
	v_mul_f64_e32 v[40:41], s[18:19], v[40:41]
	v_mul_f64_e32 v[46:47], s[18:19], v[46:47]
	;; [unrolled: 1-line block ×4, first 2 shown]
	v_fma_f64 v[88:89], v[88:89], s[10:11], v[78:79]
	v_fma_f64 v[90:91], v[90:91], s[10:11], v[82:83]
	v_fma_f64 v[98:99], v[146:147], s[14:15], -v[98:99]
	v_fma_f64 v[100:101], v[155:156], s[14:15], -v[100:101]
	s_wait_alu 0xfffe
	v_fma_f64 v[78:79], v[146:147], s[16:17], -v[78:79]
	v_fma_f64 v[82:83], v[155:156], s[16:17], -v[82:83]
	v_fma_f64 v[146:147], v[102:103], s[26:27], v[157:158]
	v_fma_f64 v[155:156], v[104:105], s[26:27], v[159:160]
	v_fma_f64 v[94:95], v[94:95], s[12:13], -v[157:158]
	v_fma_f64 v[96:97], v[96:97], s[12:13], -v[159:160]
	;; [unrolled: 1-line block ×3, first 2 shown]
	v_fma_f64 v[118:119], v[118:119], s[10:11], v[106:107]
	v_fma_f64 v[120:121], v[120:121], s[10:11], v[108:109]
	v_fma_f64 v[157:158], v[176:177], s[14:15], -v[165:166]
	v_fma_f64 v[159:160], v[178:179], s[14:15], -v[174:175]
	;; [unrolled: 1-line block ×4, first 2 shown]
	v_fma_f64 v[161:162], v[130:131], s[26:27], v[180:181]
	v_fma_f64 v[122:123], v[122:123], s[12:13], -v[180:181]
	v_fma_f64 v[130:131], v[130:131], s[24:25], -v[184:185]
	v_fma_f64 v[176:177], v[116:117], s[26:27], v[196:197]
	v_fma_f64 v[178:179], v[24:25], s[26:27], v[198:199]
	v_fma_f64 v[70:71], v[70:71], s[12:13], -v[196:197]
	v_fma_f64 v[116:117], v[116:117], s[24:25], -v[200:201]
	v_fma_f64 v[24:25], v[24:25], s[24:25], -v[202:203]
	v_add_f64_e32 v[0:1], v[0:1], v[62:63]
	v_add_f64_e32 v[2:3], v[2:3], v[66:67]
	v_mul_f64_e32 v[233:234], s[12:13], v[50:51]
	v_mul_f64_e32 v[235:236], s[12:13], v[56:57]
	;; [unrolled: 1-line block ×4, first 2 shown]
	v_fma_f64 v[52:53], v[52:53], s[4:5], v[16:17]
	v_fma_f64 v[58:59], v[58:59], s[4:5], v[18:19]
	v_fma_f64 v[104:105], v[104:105], s[24:25], -v[163:164]
	v_fma_f64 v[163:164], v[132:133], s[26:27], v[182:183]
	v_fma_f64 v[124:125], v[124:125], s[12:13], -v[182:183]
	v_fma_f64 v[132:133], v[132:133], s[24:25], -v[186:187]
	v_fma_f64 v[184:185], v[42:43], s[26:27], v[212:213]
	v_fma_f64 v[186:187], v[36:37], s[26:27], v[214:215]
	v_fma_f64 v[38:39], v[38:39], s[12:13], -v[212:213]
	v_fma_f64 v[72:73], v[72:73], s[12:13], -v[198:199]
	v_fma_f64 v[126:127], v[126:127], s[4:5], v[8:9]
	v_fma_f64 v[128:129], v[128:129], s[4:5], v[10:11]
	;; [unrolled: 1-line block ×6, first 2 shown]
	v_fma_f64 v[174:175], v[194:195], s[14:15], -v[190:191]
	v_fma_f64 v[134:135], v[192:193], s[16:17], -v[134:135]
	v_fma_f64 v[138:139], v[194:195], s[16:17], -v[138:139]
	v_fma_f64 v[165:166], v[192:193], s[14:15], -v[188:189]
	v_fma_f64 v[64:65], v[64:65], s[10:11], v[142:143]
	v_fma_f64 v[136:137], v[136:137], s[10:11], v[144:145]
	;; [unrolled: 1-line block ×4, first 2 shown]
	v_fma_f64 v[142:143], v[208:209], s[16:17], -v[142:143]
	v_fma_f64 v[144:145], v[210:211], s[16:17], -v[144:145]
	;; [unrolled: 1-line block ×7, first 2 shown]
	v_fma_f64 v[76:77], v[76:77], s[10:11], v[40:41]
	v_fma_f64 v[80:81], v[80:81], s[10:11], v[46:47]
	;; [unrolled: 1-line block ×16, first 2 shown]
	v_fma_f64 v[40:41], v[224:225], s[16:17], -v[40:41]
	v_fma_f64 v[46:47], v[226:227], s[16:17], -v[46:47]
	;; [unrolled: 1-line block ×8, first 2 shown]
	v_fma_f64 v[155:156], v[86:87], s[22:23], v[155:156]
	v_add_f64_e32 v[62:63], v[88:89], v[52:53]
	v_add_f64_e32 v[66:67], v[90:91], v[58:59]
	v_fma_f64 v[96:97], v[86:87], s[22:23], v[96:97]
	v_fma_f64 v[86:87], v[86:87], s[22:23], v[104:105]
	;; [unrolled: 1-line block ×9, first 2 shown]
	v_add_f64_e32 v[38:39], v[78:79], v[52:53]
	v_add_f64_e32 v[70:71], v[82:83], v[58:59]
	;; [unrolled: 1-line block ×4, first 2 shown]
	v_fma_f64 v[163:164], v[26:27], s[22:23], v[72:73]
	v_add_f64_e32 v[72:73], v[118:119], v[126:127]
	v_add_f64_e32 v[78:79], v[120:121], v[128:129]
	;; [unrolled: 1-line block ×14, first 2 shown]
	v_fma_f64 v[198:199], v[34:35], s[22:23], v[42:43]
	v_fma_f64 v[200:201], v[28:29], s[22:23], v[36:37]
	v_add_f64_e32 v[138:139], v[142:143], v[44:45]
	v_add_f64_e32 v[140:141], v[144:145], v[92:93]
	v_fma_f64 v[196:197], v[28:29], s[22:23], v[32:33]
	v_add_f64_e32 v[134:135], v[180:181], v[44:45]
	v_add_f64_e32 v[136:137], v[182:183], v[92:93]
	v_fma_f64 v[192:193], v[30:31], s[22:23], v[192:193]
	v_fma_f64 v[194:195], v[60:61], s[22:23], v[194:195]
	v_add_f64_e32 v[142:143], v[76:77], v[22:23]
	v_add_f64_e32 v[144:145], v[80:81], v[24:25]
	v_fma_f64 v[157:158], v[30:31], s[22:23], v[54:55]
	;; [unrolled: 4-line block ×3, first 2 shown]
	v_fma_f64 v[204:205], v[60:61], s[22:23], v[56:57]
	v_add_f64_e32 v[165:166], v[188:189], v[22:23]
	v_add_f64_e32 v[174:175], v[190:191], v[24:25]
	;; [unrolled: 1-line block ×3, first 2 shown]
	v_add_f64_e64 v[24:25], v[66:67], -v[146:147]
	v_add_f64_e32 v[26:27], v[86:87], v[38:39]
	v_add_f64_e64 v[28:29], v[70:71], -v[84:85]
	v_add_f64_e64 v[30:31], v[52:53], -v[96:97]
	v_add_f64_e32 v[32:33], v[94:95], v[58:59]
	v_add_f64_e32 v[34:35], v[96:97], v[52:53]
	v_add_f64_e64 v[36:37], v[58:59], -v[94:95]
	v_add_f64_e64 v[38:39], v[38:39], -v[86:87]
	v_add_f64_e32 v[40:41], v[84:85], v[70:71]
	v_add_f64_e64 v[42:43], v[62:63], -v[155:156]
	v_add_f64_e32 v[44:45], v[146:147], v[66:67]
	v_add_f64_e32 v[46:47], v[104:105], v[72:73]
	v_add_f64_e64 v[48:49], v[78:79], -v[102:103]
	v_add_f64_e32 v[50:51], v[114:115], v[82:83]
	v_add_f64_e64 v[52:53], v[88:89], -v[110:111]
	v_add_f64_e64 v[54:55], v[90:91], -v[124:125]
	v_add_f64_e32 v[56:57], v[122:123], v[98:99]
	v_add_f64_e32 v[58:59], v[124:125], v[90:91]
	v_add_f64_e64 v[60:61], v[98:99], -v[122:123]
	v_add_f64_e64 v[62:63], v[82:83], -v[114:115]
	v_add_f64_e32 v[64:65], v[110:111], v[88:89]
	v_add_f64_e64 v[66:67], v[72:73], -v[104:105]
	v_add_f64_e32 v[68:69], v[102:103], v[78:79]
	v_add_f64_e32 v[70:71], v[132:133], v[100:101]
	;; [unrolled: 12-line block ×4, first 2 shown]
	v_add_f64_e64 v[120:121], v[144:145], -v[192:193]
	v_add_f64_e32 v[122:123], v[159:160], v[180:181]
	v_add_f64_e64 v[124:125], v[182:183], -v[157:158]
	v_add_co_u32 v20, s0, s8, v20
	v_add_f64_e64 v[126:127], v[165:166], -v[204:205]
	v_add_f64_e32 v[128:129], v[202:203], v[174:175]
	v_add_f64_e32 v[130:131], v[204:205], v[165:166]
	v_add_f64_e64 v[132:133], v[174:175], -v[202:203]
	s_wait_alu 0xf1ff
	v_add_co_ci_u32_e64 v21, s0, s9, v21, s0
	v_add_f64_e64 v[134:135], v[180:181], -v[159:160]
	v_add_f64_e32 v[136:137], v[157:158], v[182:183]
	v_add_f64_e64 v[138:139], v[142:143], -v[194:195]
	v_add_f64_e32 v[140:141], v[192:193], v[144:145]
	ds_store_b128 v230, v[16:19]
	ds_store_b128 v230, v[22:25] offset:896
	ds_store_b128 v230, v[26:29] offset:1792
	;; [unrolled: 1-line block ×34, first 2 shown]
	global_wb scope:SCOPE_SE
	s_wait_dscnt 0x0
	s_barrier_signal -1
	s_barrier_wait -1
	global_inv scope:SCOPE_SE
	s_clause 0x1
	global_load_b128 v[108:111], v[20:21], off offset:6208
	global_load_b128 v[8:11], v[20:21], off offset:6224
	v_mov_b32_e32 v155, v148
	s_clause 0x1
	global_load_b128 v[12:15], v[20:21], off offset:6240
	global_load_b128 v[16:19], v[20:21], off offset:6256
	s_mov_b32 s10, 0x134454ff
	s_mov_b32 s11, 0x3fee6f0e
	;; [unrolled: 1-line block ×3, first 2 shown]
	v_lshlrev_b64_e32 v[0:1], 4, v[154:155]
	v_mov_b32_e32 v154, v148
	s_mov_b32 s12, 0x372fe950
	s_mov_b32 s13, 0x3fd3c6ef
	s_delay_alu instid0(VALU_DEP_2) | instskip(NEXT) | instid1(VALU_DEP_2)
	v_add_co_u32 v0, s0, s8, v0
	v_lshlrev_b64_e32 v[2:3], 4, v[153:154]
	s_wait_alu 0xf1ff
	v_add_co_ci_u32_e64 v1, s0, s9, v1, s0
	v_mov_b32_e32 v153, v148
	s_clause 0x3
	global_load_b128 v[20:23], v[0:1], off offset:6208
	global_load_b128 v[24:27], v[0:1], off offset:6224
	;; [unrolled: 1-line block ×4, first 2 shown]
	v_add_co_u32 v0, s0, s8, v2
	s_wait_alu 0xf1ff
	v_add_co_ci_u32_e64 v1, s0, s9, v3, s0
	v_lshlrev_b64_e32 v[2:3], 4, v[152:153]
	v_mov_b32_e32 v152, v148
	s_clause 0x3
	global_load_b128 v[36:39], v[0:1], off offset:6208
	global_load_b128 v[40:43], v[0:1], off offset:6224
	global_load_b128 v[62:65], v[0:1], off offset:6240
	global_load_b128 v[66:69], v[0:1], off offset:6256
	v_add_co_u32 v2, s0, s8, v2
	s_wait_alu 0xf1ff
	v_add_co_ci_u32_e64 v3, s0, s9, v3, s0
	global_load_b128 v[70:73], v[2:3], off offset:6208
	v_lshlrev_b64_e32 v[0:1], 4, v[151:152]
	v_mov_b32_e32 v151, v148
	s_clause 0x2
	global_load_b128 v[74:77], v[2:3], off offset:6224
	global_load_b128 v[78:81], v[2:3], off offset:6240
	;; [unrolled: 1-line block ×3, first 2 shown]
	v_add_co_u32 v0, s0, s8, v0
	s_wait_alu 0xf1ff
	v_add_co_ci_u32_e64 v1, s0, s9, v1, s0
	global_load_b128 v[116:119], v[0:1], off offset:6208
	v_lshlrev_b64_e32 v[2:3], 4, v[150:151]
	v_mov_b32_e32 v150, v148
	s_clause 0x2
	global_load_b128 v[120:123], v[0:1], off offset:6224
	global_load_b128 v[128:131], v[0:1], off offset:6240
	;; [unrolled: 1-line block ×3, first 2 shown]
	v_add_co_u32 v2, s0, s8, v2
	s_wait_alu 0xf1ff
	v_add_co_ci_u32_e64 v3, s0, s9, v3, s0
	v_lshlrev_b64_e32 v[0:1], 4, v[149:150]
	s_clause 0x2
	global_load_b128 v[144:147], v[2:3], off offset:6208
	global_load_b128 v[148:151], v[2:3], off offset:6224
	;; [unrolled: 1-line block ×3, first 2 shown]
	v_add_co_u32 v0, s0, s8, v0
	s_wait_alu 0xf1ff
	v_add_co_ci_u32_e64 v1, s0, s9, v1, s0
	s_clause 0x4
	global_load_b128 v[156:159], v[2:3], off offset:6256
	global_load_b128 v[160:163], v[0:1], off offset:6208
	global_load_b128 v[164:167], v[0:1], off offset:6224
	global_load_b128 v[174:177], v[0:1], off offset:6240
	global_load_b128 v[178:181], v[0:1], off offset:6256
	ds_load_b128 v[44:47], v230 offset:6272
	ds_load_b128 v[48:51], v230 offset:12544
	;; [unrolled: 1-line block ×9, first 2 shown]
	s_mov_b32 s0, 0x4755a5e
	s_mov_b32 s1, 0x3fe2cf23
	;; [unrolled: 1-line block ×3, first 2 shown]
	s_wait_alu 0xfffe
	s_mov_b32 s8, s10
	s_mov_b32 s4, s0
	s_wait_loadcnt_dscnt 0x1b08
	v_mul_f64_e32 v[52:53], v[46:47], v[110:111]
	v_mul_f64_e32 v[6:7], v[44:45], v[110:111]
	s_wait_loadcnt_dscnt 0x1a07
	v_mul_f64_e32 v[82:83], v[50:51], v[10:11]
	v_mul_f64_e32 v[10:11], v[48:49], v[10:11]
	ds_load_b128 v[110:113], v230 offset:8064
	ds_load_b128 v[124:127], v230 offset:19712
	;; [unrolled: 1-line block ×3, first 2 shown]
	s_wait_loadcnt_dscnt 0x1909
	v_mul_f64_e32 v[84:85], v[60:61], v[14:15]
	v_mul_f64_e32 v[14:15], v[58:59], v[14:15]
	s_wait_loadcnt_dscnt 0x1808
	v_mul_f64_e32 v[132:133], v[90:91], v[18:19]
	v_mul_f64_e32 v[18:19], v[88:89], v[18:19]
	ds_load_b128 v[136:139], v230 offset:14336
	ds_load_b128 v[190:193], v230 offset:15232
	;; [unrolled: 1-line block ×17, first 2 shown]
	s_wait_loadcnt_dscnt 0x1718
	v_mul_f64_e32 v[134:135], v[94:95], v[22:23]
	s_wait_loadcnt_dscnt 0x1616
	v_mul_f64_e32 v[168:169], v[98:99], v[26:27]
	v_mul_f64_e32 v[26:27], v[96:97], v[26:27]
	s_wait_loadcnt_dscnt 0x1415
	v_mul_f64_e32 v[172:173], v[106:107], v[34:35]
	s_wait_dscnt 0x12
	v_mul_f64_e32 v[0:1], v[126:127], v[30:31]
	v_mul_f64_e32 v[2:3], v[124:125], v[30:31]
	;; [unrolled: 1-line block ×4, first 2 shown]
	v_fma_f64 v[86:87], v[44:45], v[108:109], -v[52:53]
	v_fma_f64 v[108:109], v[46:47], v[108:109], v[6:7]
	v_fma_f64 v[46:47], v[48:49], v[8:9], -v[82:83]
	v_fma_f64 v[114:115], v[50:51], v[8:9], v[10:11]
	s_wait_loadcnt 0x13
	v_mul_f64_e32 v[6:7], v[112:113], v[38:39]
	v_mul_f64_e32 v[8:9], v[110:111], v[38:39]
	s_wait_loadcnt_dscnt 0x1111
	v_mul_f64_e32 v[38:39], v[186:187], v[64:65]
	v_fma_f64 v[44:45], v[58:59], v[12:13], -v[84:85]
	v_fma_f64 v[60:61], v[60:61], v[12:13], v[14:15]
	s_wait_dscnt 0x10
	v_mul_f64_e32 v[10:11], v[138:139], v[42:43]
	v_mul_f64_e32 v[12:13], v[136:137], v[42:43]
	v_mul_f64_e32 v[14:15], v[188:189], v[64:65]
	v_fma_f64 v[58:59], v[88:89], v[16:17], -v[132:133]
	v_fma_f64 v[84:85], v[90:91], v[16:17], v[18:19]
	s_wait_loadcnt_dscnt 0x100e
	v_mul_f64_e32 v[16:17], v[196:197], v[68:69]
	v_mul_f64_e32 v[18:19], v[194:195], v[68:69]
	s_wait_loadcnt_dscnt 0xf0c
	v_mul_f64_e32 v[42:43], v[204:205], v[72:73]
	v_mul_f64_e32 v[52:53], v[202:203], v[72:73]
	s_wait_loadcnt 0xe
	v_mul_f64_e32 v[68:69], v[192:193], v[76:77]
	v_mul_f64_e32 v[72:73], v[190:191], v[76:77]
	s_wait_loadcnt_dscnt 0xd0a
	v_mul_f64_e32 v[82:83], v[212:213], v[80:81]
	v_mul_f64_e32 v[48:49], v[210:211], v[80:81]
	v_fma_f64 v[132:133], v[96:97], v[24:25], -v[168:169]
	v_fma_f64 v[88:89], v[92:93], v[20:21], -v[134:135]
	;; [unrolled: 1-line block ×3, first 2 shown]
	v_fma_f64 v[134:135], v[98:99], v[24:25], v[26:27]
	s_wait_loadcnt 0xc
	v_mul_f64_e32 v[30:31], v[198:199], v[102:103]
	v_fma_f64 v[90:91], v[124:125], v[28:29], -v[0:1]
	v_fma_f64 v[80:81], v[126:127], v[28:29], v[2:3]
	s_wait_loadcnt_dscnt 0xa08
	v_mul_f64_e32 v[0:1], v[220:221], v[122:123]
	v_mul_f64_e32 v[2:3], v[218:219], v[122:123]
	v_fma_f64 v[20:21], v[94:95], v[20:21], v[22:23]
	v_mul_f64_e32 v[50:51], v[200:201], v[102:103]
	v_fma_f64 v[4:5], v[106:107], v[32:33], v[4:5]
	v_mul_f64_e32 v[34:35], v[208:209], v[118:119]
	v_mul_f64_e32 v[118:119], v[206:207], v[118:119]
	s_wait_loadcnt 0x9
	v_mul_f64_e32 v[28:29], v[216:217], v[130:131]
	v_mul_f64_e32 v[122:123], v[214:215], v[130:131]
	s_wait_loadcnt_dscnt 0x806
	v_mul_f64_e32 v[32:33], v[228:229], v[142:143]
	v_mul_f64_e32 v[106:107], v[226:227], v[142:143]
	s_wait_loadcnt_dscnt 0x704
	v_mul_f64_e32 v[130:131], v[237:238], v[146:147]
	v_mul_f64_e32 v[142:143], v[235:236], v[146:147]
	v_fma_f64 v[172:173], v[110:111], v[36:37], -v[6:7]
	v_fma_f64 v[168:169], v[112:113], v[36:37], v[8:9]
	s_wait_loadcnt_dscnt 0x502
	v_mul_f64_e32 v[36:37], v[245:246], v[154:155]
	v_fma_f64 v[98:99], v[188:189], v[62:63], v[38:39]
	s_wait_loadcnt_dscnt 0x101
	v_mul_f64_e32 v[38:39], v[249:250], v[176:177]
	v_mul_f64_e32 v[176:177], v[247:248], v[176:177]
	;; [unrolled: 1-line block ×3, first 2 shown]
	v_fma_f64 v[102:103], v[186:187], v[62:63], -v[14:15]
	v_mul_f64_e32 v[186:187], v[184:185], v[166:167]
	v_mul_f64_e32 v[146:147], v[224:225], v[150:151]
	v_fma_f64 v[62:63], v[194:195], v[66:67], -v[16:17]
	v_fma_f64 v[166:167], v[196:197], v[66:67], v[18:19]
	s_wait_loadcnt_dscnt 0x0
	v_mul_f64_e32 v[194:195], v[253:254], v[180:181]
	v_mul_f64_e32 v[180:181], v[251:252], v[180:181]
	v_fma_f64 v[94:95], v[190:191], v[74:75], -v[68:69]
	v_fma_f64 v[96:97], v[204:205], v[70:71], v[52:53]
	v_fma_f64 v[68:69], v[210:211], v[78:79], -v[82:83]
	v_fma_f64 v[66:67], v[212:213], v[78:79], v[48:49]
	v_fma_f64 v[104:105], v[192:193], v[74:75], v[72:73]
	v_mul_f64_e32 v[150:151], v[222:223], v[150:151]
	v_fma_f64 v[136:137], v[136:137], v[40:41], -v[10:11]
	v_fma_f64 v[138:139], v[138:139], v[40:41], v[12:13]
	v_fma_f64 v[52:53], v[200:201], v[100:101], v[30:31]
	v_fma_f64 v[92:93], v[202:203], v[70:71], -v[42:43]
	v_mul_f64_e32 v[40:41], v[233:234], v[158:159]
	v_fma_f64 v[112:113], v[218:219], v[120:121], -v[0:1]
	v_fma_f64 v[126:127], v[220:221], v[120:121], v[2:3]
	scratch_store_b64 off, v[20:21], off offset:96 ; 8-byte Folded Spill
	v_fma_f64 v[48:49], v[198:199], v[100:101], -v[50:51]
	scratch_store_b64 off, v[4:5], off offset:104 ; 8-byte Folded Spill
	ds_load_b128 v[24:27], v230
	ds_load_b128 v[20:23], v230 offset:896
	ds_load_b128 v[16:19], v230 offset:1792
	;; [unrolled: 1-line block ×5, first 2 shown]
	v_fma_f64 v[110:111], v[206:207], v[116:117], -v[34:35]
	v_fma_f64 v[124:125], v[208:209], v[116:117], v[118:119]
	v_fma_f64 v[72:73], v[214:215], v[128:129], -v[28:29]
	v_fma_f64 v[116:117], v[235:236], v[144:145], -v[130:131]
	v_fma_f64 v[70:71], v[216:217], v[128:129], v[122:123]
	v_fma_f64 v[128:129], v[237:238], v[144:145], v[142:143]
	v_mul_f64_e32 v[154:155], v[243:244], v[154:155]
	v_fma_f64 v[78:79], v[243:244], v[152:153], -v[36:37]
	v_dual_mov_b32 v36, v86 :: v_dual_mov_b32 v37, v87
	v_fma_f64 v[82:83], v[247:248], v[174:175], -v[38:39]
	v_fma_f64 v[0:1], v[249:250], v[174:175], v[176:177]
	v_add_f64_e64 v[247:248], v[58:59], -v[44:45]
	v_mov_b32_e32 v87, v47
	v_add_f64_e64 v[2:3], v[36:37], -v[46:47]
	v_mov_b32_e32 v86, v46
	v_fma_f64 v[118:119], v[222:223], v[148:149], -v[146:147]
	v_fma_f64 v[144:145], v[251:252], v[178:179], -v[194:195]
	scratch_store_b64 off, v[36:37], off offset:16 ; 8-byte Folded Spill
	s_wait_dscnt 0x5
	v_add_f64_e32 v[142:143], v[24:25], v[36:37]
	v_add_f64_e32 v[34:35], v[36:37], v[58:59]
	;; [unrolled: 1-line block ×3, first 2 shown]
	scratch_load_b64 v[46:47], off, off offset:104 th:TH_LOAD_LU ; 8-byte Folded Reload
	v_mul_f64_e32 v[158:159], v[231:232], v[158:159]
	v_fma_f64 v[130:131], v[224:225], v[148:149], v[150:151]
	v_dual_mov_b32 v149, v45 :: v_dual_mov_b32 v148, v44
	v_add_f64_e64 v[50:51], v[66:67], -v[52:53]
	v_add_f64_e64 v[251:252], v[86:87], -v[36:37]
	scratch_load_b64 v[36:37], off, off offset:96 th:TH_LOAD_LU ; 8-byte Folded Reload
	v_mul_f64_e32 v[64:65], v[241:242], v[162:163]
	v_mul_f64_e32 v[162:163], v[239:240], v[162:163]
	v_fma_f64 v[32:33], v[226:227], v[140:141], -v[32:33]
	v_fma_f64 v[30:31], v[228:229], v[140:141], v[106:107]
	v_fma_f64 v[140:141], v[231:232], v[156:157], -v[40:41]
	v_dual_mov_b32 v40, v58 :: v_dual_mov_b32 v41, v59
	v_dual_mov_b32 v44, v84 :: v_dual_mov_b32 v45, v85
	;; [unrolled: 1-line block ×3, first 2 shown]
	v_add_f64_e32 v[146:147], v[114:115], v[60:61]
	v_add_f64_e64 v[150:151], v[84:85], -v[60:61]
	v_fma_f64 v[122:123], v[182:183], v[164:165], -v[186:187]
	v_fma_f64 v[74:75], v[245:246], v[152:153], v[154:155]
	v_add_f64_e32 v[182:183], v[134:135], v[80:81]
	v_fma_f64 v[100:101], v[184:185], v[164:165], v[188:189]
	v_add_f64_e32 v[194:195], v[136:137], v[102:103]
	v_add_f64_e32 v[196:197], v[172:173], v[62:63]
	scratch_store_b64 off, v[0:1], off offset:32 ; 8-byte Folded Spill
	v_fma_f64 v[0:1], v[253:254], v[178:179], v[180:181]
	v_mov_b32_e32 v254, v109
	v_add_f64_e32 v[247:248], v[2:3], v[247:248]
	v_add_f64_e64 v[2:3], v[104:105], -v[96:97]
	v_mov_b32_e32 v253, v108
	v_add_f64_e32 v[198:199], v[138:139], v[98:99]
	v_add_f64_e32 v[200:201], v[168:169], v[166:167]
	;; [unrolled: 1-line block ×6, first 2 shown]
	v_fma_f64 v[42:43], v[233:234], v[156:157], v[158:159]
	v_add_f64_e32 v[218:219], v[112:113], v[72:73]
	v_add_f64_e32 v[222:223], v[126:127], v[70:71]
	;; [unrolled: 1-line block ×3, first 2 shown]
	s_wait_dscnt 0x3
	v_add_f64_e32 v[202:203], v[16:17], v[172:173]
	v_add_f64_e64 v[216:217], v[136:137], -v[172:173]
	v_add_f64_e64 v[226:227], v[102:103], -v[62:63]
	v_fma_f64 v[120:121], v[239:240], v[160:161], -v[64:65]
	v_fma_f64 v[106:107], v[241:242], v[160:161], v[162:163]
	v_add_f64_e32 v[160:161], v[132:133], v[90:91]
	v_add_f64_e32 v[220:221], v[110:111], v[32:33]
	;; [unrolled: 1-line block ×5, first 2 shown]
	v_fma_f64 v[28:29], v[38:39], -0.5, v[24:25]
	s_wait_dscnt 0x0
	v_add_f64_e32 v[38:39], v[4:5], v[116:117]
	v_fma_f64 v[24:25], v[34:35], -0.5, v[24:25]
	v_add_f64_e64 v[164:165], v[76:77], -v[90:91]
	v_add_f64_e64 v[178:179], v[90:91], -v[76:77]
	v_add_f64_e64 v[243:244], v[138:139], -v[168:169]
	v_add_f64_e64 v[245:246], v[98:99], -v[166:167]
	v_add_f64_e32 v[235:236], v[130:131], v[74:75]
	v_add_f64_e64 v[204:205], v[172:173], -v[136:137]
	v_add_f64_e64 v[239:240], v[168:169], -v[138:139]
	v_fma_f64 v[194:195], v[194:195], -0.5, v[16:17]
	v_fma_f64 v[16:17], v[196:197], -0.5, v[16:17]
	v_add_f64_e64 v[241:242], v[166:167], -v[98:99]
	v_add_f64_e64 v[214:215], v[62:63], -v[102:103]
	v_add_f64_e32 v[2:3], v[2:3], v[50:51]
	scratch_store_b64 off, v[0:1], off offset:24 ; 8-byte Folded Spill
	v_add_f64_e64 v[0:1], v[148:149], -v[58:59]
	v_dual_mov_b32 v58, v60 :: v_dual_mov_b32 v59, v61
	v_add_f64_e32 v[152:153], v[253:254], v[84:85]
	v_add_f64_e64 v[154:155], v[114:115], -v[253:254]
	v_add_f64_e32 v[64:65], v[26:27], v[253:254]
	v_add_f64_e64 v[108:109], v[253:254], -v[114:115]
	v_add_f64_e64 v[156:157], v[58:59], -v[84:85]
	v_add_f64_e32 v[237:238], v[128:129], v[42:43]
	v_fma_f64 v[196:197], v[198:199], -0.5, v[18:19]
	v_fma_f64 v[18:19], v[200:201], -0.5, v[18:19]
	v_add_f64_e64 v[198:199], v[68:69], -v[48:49]
	v_add_f64_e32 v[200:201], v[14:15], v[96:97]
	v_fma_f64 v[206:207], v[206:207], -0.5, v[12:13]
	v_fma_f64 v[218:219], v[218:219], -0.5, v[8:9]
	;; [unrolled: 1-line block ×8, first 2 shown]
	v_add_f64_e32 v[216:217], v[216:217], v[226:227]
	v_add_f64_e64 v[226:227], v[70:71], -v[30:31]
	v_add_f64_e64 v[50:51], v[130:131], -v[128:129]
	v_add_f64_e32 v[84:85], v[56:57], v[106:107]
	scratch_load_b64 v[34:35], off, off offset:24 th:TH_LOAD_LU ; 8-byte Folded Reload
	v_add_f64_e32 v[243:244], v[243:244], v[245:246]
	v_fma_f64 v[235:236], v[235:236], -0.5, v[6:7]
	v_add_f64_e64 v[245:246], v[140:141], -v[78:79]
	v_add_f64_e32 v[239:240], v[239:240], v[241:242]
	v_add_f64_e64 v[241:242], v[116:117], -v[118:119]
	v_add_f64_e32 v[204:205], v[204:205], v[214:215]
	v_add_f64_e64 v[214:215], v[126:127], -v[124:125]
	scratch_store_b64 off, v[2:3], off offset:56 ; 8-byte Folded Spill
	v_add_f64_e64 v[2:3], v[42:43], -v[74:75]
	v_add_f64_e32 v[0:1], v[251:252], v[0:1]
	v_dual_mov_b32 v252, v53 :: v_dual_mov_b32 v251, v52
	v_add_f64_e32 v[64:65], v[64:65], v[114:115]
	v_add_f64_e64 v[114:115], v[114:115], -v[58:59]
	v_fma_f64 v[237:238], v[237:238], -0.5, v[6:7]
	v_add_f64_e32 v[200:201], v[200:201], v[104:105]
	v_add_f64_e32 v[84:85], v[84:85], v[100:101]
	;; [unrolled: 1-line block ×4, first 2 shown]
	scratch_store_b64 off, v[0:1], off offset:80 ; 8-byte Folded Spill
	v_add_f64_e32 v[0:1], v[154:155], v[156:157]
	v_add_f64_e64 v[156:157], v[32:33], -v[72:73]
	v_add_f64_e32 v[64:65], v[64:65], v[58:59]
	scratch_load_b64 v[58:59], off, off offset:16 th:TH_LOAD_LU ; 8-byte Folded Reload
	scratch_store_b64 off, v[0:1], off offset:88 ; 8-byte Folded Spill
	v_dual_mov_b32 v0, v30 :: v_dual_mov_b32 v1, v31
	s_wait_loadcnt 0x3
	v_add_f64_e64 v[192:193], v[80:81], -v[46:47]
	v_add_f64_e64 v[186:187], v[46:47], -v[80:81]
	s_wait_loadcnt 0x2
	v_dual_mov_b32 v61, v37 :: v_dual_mov_b32 v60, v36
	v_add_f64_e32 v[174:175], v[249:250], v[76:77]
	v_add_f64_e32 v[158:159], v[20:21], v[249:250]
	;; [unrolled: 1-line block ×3, first 2 shown]
	v_add_f64_e64 v[184:185], v[36:37], -v[134:135]
	v_add_f64_e32 v[188:189], v[36:37], v[46:47]
	v_add_f64_e64 v[190:191], v[134:135], -v[36:37]
	v_fma_f64 v[36:37], v[146:147], -0.5, v[26:27]
	v_fma_f64 v[26:27], v[152:153], -0.5, v[26:27]
	v_add_f64_e64 v[152:153], v[92:93], -v[94:95]
	v_add_f64_e32 v[146:147], v[12:13], v[92:93]
	v_fma_f64 v[12:13], v[208:209], -0.5, v[12:13]
	v_fma_f64 v[208:209], v[210:211], -0.5, v[14:15]
	v_fma_f64 v[14:15], v[212:213], -0.5, v[14:15]
	v_add_f64_e64 v[210:211], v[96:97], -v[104:105]
	v_add_f64_e32 v[212:213], v[8:9], v[110:111]
	v_add_f64_e32 v[8:9], v[10:11], v[124:125]
	;; [unrolled: 1-line block ×3, first 2 shown]
	v_add_f64_e64 v[6:7], v[52:53], -v[66:67]
	v_add_f64_e32 v[52:53], v[108:109], v[150:151]
	v_add_f64_e64 v[150:151], v[110:111], -v[112:113]
	v_add_f64_e64 v[162:163], v[249:250], -v[132:133]
	;; [unrolled: 1-line block ×6, first 2 shown]
	v_fma_f64 v[20:21], v[174:175], -0.5, v[20:21]
	v_fma_f64 v[174:175], v[182:183], -0.5, v[22:23]
	v_add_f64_e64 v[182:183], v[48:49], -v[68:69]
	v_add_f64_e32 v[158:159], v[158:159], v[132:133]
	v_fma_f64 v[22:23], v[188:189], -0.5, v[22:23]
	v_add_f64_e64 v[188:189], v[94:95], -v[92:93]
	v_add_f64_e32 v[190:191], v[190:191], v[192:193]
	v_add_f64_e64 v[192:193], v[30:31], -v[70:71]
	v_add_f64_e64 v[132:133], v[132:133], -v[90:91]
	v_add_f64_e32 v[184:185], v[184:185], v[186:187]
	v_add_f64_e64 v[186:187], v[124:125], -v[126:127]
	v_add_f64_e32 v[146:147], v[146:147], v[94:95]
	v_add_f64_e64 v[92:93], v[92:93], -v[48:49]
	v_add_f64_e64 v[94:95], v[94:95], -v[68:69]
	v_add_f64_e32 v[212:213], v[212:213], v[112:113]
	v_add_f64_e32 v[6:7], v[210:211], v[6:7]
	;; [unrolled: 1-line block ×4, first 2 shown]
	v_add_f64_e64 v[164:165], v[112:113], -v[110:111]
	v_add_f64_e32 v[176:177], v[176:177], v[178:179]
	v_add_f64_e64 v[178:179], v[72:73], -v[32:33]
	v_dual_mov_b32 v151, v145 :: v_dual_mov_b32 v150, v144
	v_dual_mov_b32 v145, v47 :: v_dual_mov_b32 v144, v46
	v_add_f64_e64 v[112:113], v[112:113], -v[72:73]
	v_add_f64_e64 v[110:111], v[110:111], -v[32:33]
	v_add_f64_e32 v[4:5], v[152:153], v[182:183]
	v_add_f64_e32 v[90:91], v[158:159], v[90:91]
	v_mov_b32_e32 v152, v251
	v_add_f64_e64 v[182:183], v[118:119], -v[116:117]
	v_add_f64_e64 v[158:159], v[106:107], -v[100:101]
	v_add_f64_e32 v[186:187], v[186:187], v[192:193]
	v_add_f64_e32 v[192:193], v[54:55], v[120:121]
	;; [unrolled: 1-line block ×3, first 2 shown]
	scratch_store_b64 off, v[6:7], off offset:48 ; 8-byte Folded Spill
	v_add_f64_e64 v[6:7], v[128:129], -v[130:131]
	scratch_store_b64 off, v[30:31], off offset:40 ; 8-byte Folded Spill
	scratch_load_b64 v[30:31], off, off offset:32 th:TH_LOAD_LU ; 8-byte Folded Reload
	v_add_f64_e32 v[210:211], v[164:165], v[178:179]
	v_add_f64_e32 v[178:179], v[180:181], v[134:135]
	;; [unrolled: 1-line block ×4, first 2 shown]
	v_add_f64_e64 v[136:137], v[136:137], -v[102:103]
	v_add_f64_e64 v[134:135], v[134:135], -v[80:81]
	v_add_f64_e64 v[138:139], v[138:139], -v[98:99]
	v_add_f64_e64 v[164:165], v[74:75], -v[42:43]
	v_add_f64_e32 v[228:229], v[241:242], v[245:246]
	v_add_f64_e64 v[241:242], v[120:121], -v[122:123]
	scratch_store_b64 off, v[4:5], off offset:72 ; 8-byte Folded Spill
	v_add_f64_e32 v[4:5], v[188:189], v[198:199]
	v_add_f64_e64 v[198:199], v[78:79], -v[140:141]
	v_dual_mov_b32 v189, v43 :: v_dual_mov_b32 v188, v42
	v_dual_mov_b32 v42, v44 :: v_dual_mov_b32 v43, v45
	s_delay_alu instid0(VALU_DEP_2) | instskip(NEXT) | instid1(VALU_DEP_2)
	v_add_f64_e64 v[128:129], v[128:129], -v[188:189]
	v_add_f64_e64 v[44:45], v[253:254], -v[42:43]
	v_add_f64_e32 v[253:254], v[38:39], v[118:119]
	v_add_f64_e64 v[118:119], v[118:119], -v[78:79]
	v_add_f64_e32 v[42:43], v[64:65], v[42:43]
	v_add_f64_e32 v[245:246], v[6:7], v[2:3]
	v_add_f64_e64 v[2:3], v[122:123], -v[120:121]
	v_add_f64_e64 v[6:7], v[82:83], -v[150:151]
	v_add_f64_e32 v[88:89], v[178:179], v[80:81]
	v_add_f64_e32 v[102:103], v[180:181], v[102:103]
	;; [unrolled: 1-line block ×3, first 2 shown]
	v_add_f64_e64 v[80:81], v[168:169], -v[166:167]
	v_add_f64_e32 v[168:169], v[200:201], v[66:67]
	v_fma_f64 v[66:67], v[136:137], s[10:11], v[18:19]
	v_add_f64_e32 v[164:165], v[50:51], v[164:165]
	s_wait_alu 0xfffe
	v_fma_f64 v[18:19], v[136:137], s[8:9], v[18:19]
	v_fma_f64 v[64:65], v[134:135], s[8:9], v[20:21]
	;; [unrolled: 1-line block ×3, first 2 shown]
	s_wait_loadcnt 0x1
	v_add_f64_e64 v[202:203], v[58:59], -v[40:41]
	v_add_f64_e32 v[180:181], v[106:107], v[34:35]
	scratch_store_b64 off, v[4:5], off offset:64 ; 8-byte Folded Spill
	v_dual_mov_b32 v4, v140 :: v_dual_mov_b32 v5, v141
	v_add_f64_e32 v[140:141], v[142:143], v[86:87]
	v_dual_mov_b32 v143, v77 :: v_dual_mov_b32 v142, v76
	v_add_f64_e64 v[76:77], v[172:173], -v[62:63]
	v_mov_b32_e32 v157, v1
	v_add_f64_e64 v[60:61], v[60:61], -v[144:145]
	v_dual_mov_b32 v153, v252 :: v_dual_mov_b32 v156, v0
	v_add_f64_e64 v[58:59], v[249:250], -v[142:143]
	v_add_f64_e64 v[124:125], v[124:125], -v[0:1]
	v_add_f64_e32 v[142:143], v[90:91], v[142:143]
	v_add_f64_e32 v[86:87], v[120:121], v[150:151]
	;; [unrolled: 1-line block ×4, first 2 shown]
	v_add_f64_e64 v[10:11], v[120:121], -v[150:151]
	v_add_f64_e32 v[120:121], v[192:193], v[122:123]
	v_add_f64_e32 v[182:183], v[182:183], v[198:199]
	v_add_f64_e64 v[198:199], v[150:151], -v[82:83]
	v_add_f64_e32 v[144:145], v[88:89], v[144:145]
	v_add_f64_e32 v[172:173], v[102:103], v[62:63]
	v_add_f64_e64 v[126:127], v[126:127], -v[70:71]
	v_fma_f64 v[62:63], v[80:81], s[10:11], v[194:195]
	v_add_f64_e64 v[130:131], v[130:131], -v[74:75]
	v_add_f64_e64 v[122:123], v[122:123], -v[82:83]
	v_add_f64_e64 v[116:117], v[116:117], -v[4:5]
	v_fma_f64 v[192:193], v[226:227], -0.5, v[54:55]
	v_fma_f64 v[102:103], v[138:139], s[8:9], v[16:17]
	v_fma_f64 v[16:17], v[138:139], s[10:11], v[16:17]
	v_dual_mov_b32 v155, v5 :: v_dual_mov_b32 v154, v4
	v_fma_f64 v[226:227], v[202:203], s[8:9], v[36:37]
	v_add_f64_e32 v[50:51], v[140:141], v[148:149]
	v_add_f64_e32 v[148:149], v[2:3], v[6:7]
	v_fma_f64 v[0:1], v[76:77], s[4:5], v[66:67]
	v_fma_f64 v[146:147], v[76:77], s[8:9], v[196:197]
	;; [unrolled: 1-line block ×6, first 2 shown]
	v_add_f64_e32 v[174:175], v[98:99], v[166:167]
	v_fma_f64 v[98:99], v[80:81], s[8:9], v[194:195]
	v_add_f64_e32 v[194:195], v[212:213], v[72:73]
	v_fma_f64 v[72:73], v[96:97], s[10:11], v[206:207]
	v_fma_f64 v[166:167], v[76:77], s[10:11], v[196:197]
	;; [unrolled: 1-line block ×3, first 2 shown]
	v_add_f64_e32 v[200:201], v[249:250], v[70:71]
	v_fma_f64 v[70:71], v[104:105], s[8:9], v[12:13]
	v_fma_f64 v[206:207], v[104:105], s[10:11], v[12:13]
	v_add_f64_e32 v[212:213], v[253:254], v[78:79]
	v_fma_f64 v[78:79], v[92:93], s[8:9], v[208:209]
	v_fma_f64 v[208:209], v[92:93], s[10:11], v[208:209]
	;; [unrolled: 3-line block ×4, first 2 shown]
	v_add_f64_e32 v[198:199], v[241:242], v[198:199]
	v_add_f64_e64 v[241:242], v[106:107], -v[34:35]
	v_add_f64_e64 v[106:107], v[100:101], -v[106:107]
	v_fma_f64 v[54:55], v[86:87], -0.5, v[54:55]
	v_fma_f64 v[120:121], v[124:125], s[8:9], v[218:219]
	v_fma_f64 v[218:219], v[126:127], s[10:11], v[220:221]
	;; [unrolled: 1-line block ×4, first 2 shown]
	v_add_f64_e32 v[12:13], v[68:69], v[48:49]
	v_fma_f64 v[62:63], v[138:139], s[0:1], v[62:63]
	v_add_f64_e32 v[40:41], v[50:51], v[40:41]
	v_fma_f64 v[50:51], v[60:61], s[8:9], v[160:161]
	v_fma_f64 v[160:161], v[132:133], s[10:11], v[22:23]
	;; [unrolled: 1-line block ×13, first 2 shown]
	scratch_load_b64 v[0:1], off, off offset:72 th:TH_LOAD_LU ; 8-byte Folded Reload
	v_fma_f64 v[104:105], v[104:105], s[4:5], v[196:197]
	v_fma_f64 v[196:197], v[96:97], s[0:1], v[70:71]
	;; [unrolled: 1-line block ×6, first 2 shown]
	v_add_f64_e32 v[38:39], v[249:250], v[188:189]
	v_fma_f64 v[208:209], v[92:93], s[4:5], v[74:75]
	v_fma_f64 v[92:93], v[92:93], s[0:1], v[14:15]
	scratch_load_b64 v[14:15], off, off offset:80 th:TH_LOAD_LU ; 8-byte Folded Reload
	v_fma_f64 v[18:19], v[126:127], s[0:1], v[82:83]
	v_fma_f64 v[76:77], v[243:244], s[12:13], v[76:77]
	;; [unrolled: 1-line block ×16, first 2 shown]
	s_wait_loadcnt 0x2
	v_add_f64_e32 v[140:141], v[100:101], v[30:31]
	v_add_f64_e64 v[178:179], v[34:35], -v[30:31]
	v_add_f64_e64 v[8:9], v[100:101], -v[30:31]
	v_fma_f64 v[100:101], v[44:45], s[10:11], v[28:29]
	s_delay_alu instid0(VALU_DEP_4) | instskip(NEXT) | instid1(VALU_DEP_4)
	v_fma_f64 v[86:87], v[140:141], -0.5, v[56:57]
	v_add_f64_e32 v[140:141], v[158:159], v[178:179]
	v_fma_f64 v[56:57], v[180:181], -0.5, v[56:57]
	v_fma_f64 v[178:179], v[44:45], s[8:9], v[28:29]
	v_fma_f64 v[180:181], v[114:115], s[8:9], v[24:25]
	;; [unrolled: 1-line block ×9, first 2 shown]
	v_add_f64_e32 v[36:37], v[212:213], v[154:155]
	v_fma_f64 v[16:17], v[10:11], s[8:9], v[86:87]
	v_fma_f64 v[86:87], v[10:11], s[10:11], v[86:87]
	;; [unrolled: 1-line block ×23, first 2 shown]
	v_add_f64_e32 v[192:193], v[84:85], v[30:31]
	v_add_f64_e64 v[84:85], v[30:31], -v[34:35]
	v_fma_f64 v[253:254], v[122:123], s[8:9], v[56:57]
	v_fma_f64 v[138:139], v[241:242], s[0:1], v[138:139]
	;; [unrolled: 1-line block ×30, first 2 shown]
	v_add_f64_e32 v[28:29], v[251:252], v[150:151]
	v_add_f64_e32 v[30:31], v[192:193], v[34:35]
	v_fma_f64 v[34:35], v[140:141], s[12:13], v[16:17]
	s_wait_loadcnt 0x1
	v_fma_f64 v[78:79], v[0:1], s[12:13], v[6:7]
	v_fma_f64 v[82:83], v[0:1], s[12:13], v[104:105]
	scratch_load_b64 v[0:1], off, off offset:64 th:TH_LOAD_LU ; 8-byte Folded Reload
	v_add_f64_e32 v[6:7], v[106:107], v[84:85]
	v_fma_f64 v[110:111], v[210:211], s[12:13], v[124:125]
	v_fma_f64 v[106:107], v[210:211], s[12:13], v[126:127]
	;; [unrolled: 1-line block ×5, first 2 shown]
	s_wait_loadcnt 0x1
	v_fma_f64 v[231:232], v[14:15], s[12:13], v[44:45]
	v_fma_f64 v[44:45], v[122:123], s[0:1], v[86:87]
	;; [unrolled: 1-line block ×3, first 2 shown]
	scratch_load_b64 v[14:15], off, off offset:88 th:TH_LOAD_LU ; 8-byte Folded Reload
	v_fma_f64 v[122:123], v[182:183], s[12:13], v[134:135]
	v_fma_f64 v[118:119], v[228:229], s[12:13], v[130:131]
	;; [unrolled: 1-line block ×12, first 2 shown]
	s_wait_loadcnt 0x1
	v_fma_f64 v[86:87], v[0:1], s[12:13], v[196:197]
	v_fma_f64 v[90:91], v[0:1], s[12:13], v[96:97]
	scratch_load_b64 v[0:1], off, off offset:48 th:TH_LOAD_LU ; 8-byte Folded Reload
	v_add_f64_e32 v[96:97], v[200:201], v[156:157]
	s_wait_loadcnt 0x0
	v_fma_f64 v[80:81], v[0:1], s[12:13], v[206:207]
	v_fma_f64 v[84:85], v[0:1], s[12:13], v[94:95]
	scratch_load_b64 v[0:1], off, off offset:56 th:TH_LOAD_LU ; 8-byte Folded Reload
	v_add_f64_e32 v[94:95], v[194:195], v[32:33]
	v_fma_f64 v[32:33], v[198:199], s[12:13], v[116:117]
	s_wait_loadcnt 0x0
	v_fma_f64 v[88:89], v[0:1], s[12:13], v[208:209]
	v_fma_f64 v[92:93], v[0:1], s[12:13], v[92:93]
	scratch_load_b64 v[0:1], off, off offset:40 th:TH_LOAD_LU ; 8-byte Folded Reload
	v_fma_f64 v[26:27], v[14:15], s[12:13], v[158:159]
	v_fma_f64 v[233:234], v[14:15], s[12:13], v[202:203]
	v_add_f64_e32 v[14:15], v[168:169], v[152:153]
	global_wb scope:SCOPE_SE
	s_wait_loadcnt 0x0
	s_wait_storecnt 0x0
	s_barrier_signal -1
	s_barrier_wait -1
	global_inv scope:SCOPE_SE
	v_fma_f64 v[98:99], v[0:1], s[12:13], v[18:19]
	v_fma_f64 v[102:103], v[0:1], s[12:13], v[120:121]
	;; [unrolled: 1-line block ×5, first 2 shown]
	ds_store_b128 v230, v[40:43]
	ds_store_b128 v230, v[142:145] offset:896
	ds_store_b128 v230, v[24:27] offset:12544
	;; [unrolled: 1-line block ×34, first 2 shown]
	global_wb scope:SCOPE_SE
	s_wait_dscnt 0x0
	s_barrier_signal -1
	s_barrier_wait -1
	global_inv scope:SCOPE_SE
	s_and_saveexec_b32 s0, vcc_lo
	s_cbranch_execz .LBB0_29
; %bb.28:
	s_clause 0x1
	scratch_load_b64 v[0:1], off, off th:TH_LOAD_LU
	scratch_load_b64 v[32:33], off, off offset:8 th:TH_LOAD_LU
	s_wait_loadcnt 0x0
	v_mov_b32_e32 v33, 0
	v_lshlrev_b64_e32 v[8:9], 4, v[170:171]
	v_mul_lo_u32 v2, s3, v0
	v_add_nc_u32_e32 v12, 56, v32
	v_mul_lo_u32 v3, s2, v1
	v_mad_co_u64_u32 v[0:1], null, s2, v0, 0
	v_lshl_add_u32 v28, v32, 4, 0
	v_mov_b32_e32 v13, v33
	v_lshlrev_b64_e32 v[14:15], 4, v[32:33]
	v_dual_mov_b32 v23, v33 :: v_dual_add_nc_u32 v22, 0x118, v32
	v_dual_mov_b32 v25, v33 :: v_dual_add_nc_u32 v24, 0x150, v32
	v_add3_u32 v1, v1, v3, v2
	s_delay_alu instid0(VALU_DEP_3) | instskip(NEXT) | instid1(VALU_DEP_2)
	v_lshlrev_b64_e32 v[22:23], 4, v[22:23]
	v_lshlrev_b64_e32 v[10:11], 4, v[0:1]
	ds_load_b128 v[0:3], v28
	ds_load_b128 v[4:7], v28 offset:896
	v_add_co_u32 v10, vcc_lo, s6, v10
	s_wait_alu 0xfffd
	v_add_co_ci_u32_e32 v11, vcc_lo, s7, v11, vcc_lo
	s_delay_alu instid0(VALU_DEP_2) | instskip(SKIP_1) | instid1(VALU_DEP_2)
	v_add_co_u32 v30, vcc_lo, v10, v8
	s_wait_alu 0xfffd
	v_add_co_ci_u32_e32 v31, vcc_lo, v11, v9, vcc_lo
	v_lshlrev_b64_e32 v[8:9], 4, v[12:13]
	s_delay_alu instid0(VALU_DEP_3) | instskip(SKIP_1) | instid1(VALU_DEP_3)
	v_add_co_u32 v10, vcc_lo, v30, v14
	s_wait_alu 0xfffd
	v_add_co_ci_u32_e32 v11, vcc_lo, v31, v15, vcc_lo
	v_add_nc_u32_e32 v12, 0x70, v32
	s_delay_alu instid0(VALU_DEP_4)
	v_add_co_u32 v8, vcc_lo, v30, v8
	s_wait_alu 0xfffd
	v_add_co_ci_u32_e32 v9, vcc_lo, v31, v9, vcc_lo
	s_wait_dscnt 0x1
	global_store_b128 v[10:11], v[0:3], off
	s_wait_dscnt 0x0
	global_store_b128 v[8:9], v[4:7], off
	v_lshlrev_b64_e32 v[0:1], 4, v[12:13]
	v_dual_mov_b32 v9, v33 :: v_dual_add_nc_u32 v8, 0xa8, v32
	v_dual_mov_b32 v11, v33 :: v_dual_add_nc_u32 v10, 0xe0, v32
	s_delay_alu instid0(VALU_DEP_3) | instskip(SKIP_1) | instid1(VALU_DEP_4)
	v_add_co_u32 v16, vcc_lo, v30, v0
	s_wait_alu 0xfffd
	v_add_co_ci_u32_e32 v17, vcc_lo, v31, v1, vcc_lo
	ds_load_b128 v[0:3], v28 offset:1792
	ds_load_b128 v[4:7], v28 offset:2688
	v_lshlrev_b64_e32 v[18:19], 4, v[8:9]
	v_lshlrev_b64_e32 v[20:21], 4, v[10:11]
	ds_load_b128 v[8:11], v28 offset:3584
	ds_load_b128 v[12:15], v28 offset:4480
	v_add_co_u32 v18, vcc_lo, v30, v18
	s_wait_alu 0xfffd
	v_add_co_ci_u32_e32 v19, vcc_lo, v31, v19, vcc_lo
	v_add_co_u32 v20, vcc_lo, v30, v20
	s_wait_alu 0xfffd
	v_add_co_ci_u32_e32 v21, vcc_lo, v31, v21, vcc_lo
	;; [unrolled: 3-line block ×3, first 2 shown]
	s_wait_dscnt 0x3
	global_store_b128 v[16:17], v[0:3], off
	s_wait_dscnt 0x2
	global_store_b128 v[18:19], v[4:7], off
	;; [unrolled: 2-line block ×4, first 2 shown]
	v_lshlrev_b64_e32 v[0:1], 4, v[24:25]
	v_dual_mov_b32 v9, v33 :: v_dual_add_nc_u32 v8, 0x188, v32
	v_dual_mov_b32 v11, v33 :: v_dual_add_nc_u32 v10, 0x1c0, v32
	;; [unrolled: 1-line block ×3, first 2 shown]
	s_delay_alu instid0(VALU_DEP_4)
	v_add_co_u32 v16, vcc_lo, v30, v0
	s_wait_alu 0xfffd
	v_add_co_ci_u32_e32 v17, vcc_lo, v31, v1, vcc_lo
	ds_load_b128 v[0:3], v28 offset:5376
	ds_load_b128 v[4:7], v28 offset:6272
	v_lshlrev_b64_e32 v[18:19], 4, v[8:9]
	v_lshlrev_b64_e32 v[20:21], 4, v[10:11]
	ds_load_b128 v[8:11], v28 offset:7168
	ds_load_b128 v[12:15], v28 offset:8064
	v_lshlrev_b64_e32 v[22:23], 4, v[22:23]
	v_add_nc_u32_e32 v24, 0x230, v32
	v_add_co_u32 v18, vcc_lo, v30, v18
	s_wait_alu 0xfffd
	v_add_co_ci_u32_e32 v19, vcc_lo, v31, v19, vcc_lo
	v_add_co_u32 v20, vcc_lo, v30, v20
	s_wait_alu 0xfffd
	v_add_co_ci_u32_e32 v21, vcc_lo, v31, v21, vcc_lo
	v_add_co_u32 v22, vcc_lo, v30, v22
	s_wait_alu 0xfffd
	v_add_co_ci_u32_e32 v23, vcc_lo, v31, v23, vcc_lo
	s_wait_dscnt 0x3
	global_store_b128 v[16:17], v[0:3], off
	s_wait_dscnt 0x2
	global_store_b128 v[18:19], v[4:7], off
	s_wait_dscnt 0x1
	global_store_b128 v[20:21], v[8:11], off
	s_wait_dscnt 0x0
	global_store_b128 v[22:23], v[12:15], off
	v_mov_b32_e32 v9, v33
	v_lshlrev_b64_e32 v[0:1], 4, v[24:25]
	v_dual_mov_b32 v11, v33 :: v_dual_add_nc_u32 v8, 0x268, v32
	v_dual_mov_b32 v23, v33 :: v_dual_add_nc_u32 v10, 0x2a0, v32
	v_add_nc_u32_e32 v22, 0x2d8, v32
	s_delay_alu instid0(VALU_DEP_4)
	v_add_co_u32 v16, vcc_lo, v30, v0
	s_wait_alu 0xfffd
	v_add_co_ci_u32_e32 v17, vcc_lo, v31, v1, vcc_lo
	ds_load_b128 v[0:3], v28 offset:8960
	ds_load_b128 v[4:7], v28 offset:9856
	v_lshlrev_b64_e32 v[18:19], 4, v[8:9]
	v_lshlrev_b64_e32 v[20:21], 4, v[10:11]
	ds_load_b128 v[8:11], v28 offset:10752
	ds_load_b128 v[12:15], v28 offset:11648
	v_lshlrev_b64_e32 v[22:23], 4, v[22:23]
	v_add_nc_u32_e32 v24, 0x310, v32
	v_add_co_u32 v18, vcc_lo, v30, v18
	s_wait_alu 0xfffd
	v_add_co_ci_u32_e32 v19, vcc_lo, v31, v19, vcc_lo
	v_add_co_u32 v20, vcc_lo, v30, v20
	s_wait_alu 0xfffd
	v_add_co_ci_u32_e32 v21, vcc_lo, v31, v21, vcc_lo
	v_add_co_u32 v22, vcc_lo, v30, v22
	s_wait_alu 0xfffd
	v_add_co_ci_u32_e32 v23, vcc_lo, v31, v23, vcc_lo
	s_wait_dscnt 0x3
	global_store_b128 v[16:17], v[0:3], off
	s_wait_dscnt 0x2
	global_store_b128 v[18:19], v[4:7], off
	s_wait_dscnt 0x1
	global_store_b128 v[20:21], v[8:11], off
	s_wait_dscnt 0x0
	global_store_b128 v[22:23], v[12:15], off
	v_mov_b32_e32 v11, v33
	v_lshlrev_b64_e32 v[0:1], 4, v[24:25]
	v_dual_mov_b32 v23, v33 :: v_dual_add_nc_u32 v8, 0x348, v32
	v_dual_mov_b32 v9, v33 :: v_dual_add_nc_u32 v10, 0x380, v32
	v_add_nc_u32_e32 v22, 0x3b8, v32
	;; [unrolled: 34-line block ×3, first 2 shown]
	s_delay_alu instid0(VALU_DEP_4)
	v_add_co_u32 v16, vcc_lo, v30, v0
	s_wait_alu 0xfffd
	v_add_co_ci_u32_e32 v17, vcc_lo, v31, v1, vcc_lo
	ds_load_b128 v[0:3], v28 offset:16128
	ds_load_b128 v[4:7], v28 offset:17024
	v_lshlrev_b64_e32 v[18:19], 4, v[8:9]
	v_lshlrev_b64_e32 v[20:21], 4, v[10:11]
	ds_load_b128 v[8:11], v28 offset:17920
	ds_load_b128 v[12:15], v28 offset:18816
	v_lshlrev_b64_e32 v[22:23], 4, v[22:23]
	v_add_nc_u32_e32 v24, 0x4d0, v32
	v_add_co_u32 v18, vcc_lo, v30, v18
	s_wait_alu 0xfffd
	v_add_co_ci_u32_e32 v19, vcc_lo, v31, v19, vcc_lo
	v_add_co_u32 v20, vcc_lo, v30, v20
	s_wait_alu 0xfffd
	v_add_co_ci_u32_e32 v21, vcc_lo, v31, v21, vcc_lo
	;; [unrolled: 3-line block ×3, first 2 shown]
	s_wait_dscnt 0x3
	global_store_b128 v[16:17], v[0:3], off
	s_wait_dscnt 0x2
	global_store_b128 v[18:19], v[4:7], off
	;; [unrolled: 2-line block ×4, first 2 shown]
	v_lshlrev_b64_e32 v[0:1], 4, v[24:25]
	v_dual_mov_b32 v9, v33 :: v_dual_add_nc_u32 v8, 0x508, v32
	v_dual_mov_b32 v11, v33 :: v_dual_add_nc_u32 v10, 0x540, v32
	v_add_nc_u32_e32 v22, 0x578, v32
	s_delay_alu instid0(VALU_DEP_4)
	v_add_co_u32 v16, vcc_lo, v30, v0
	s_wait_alu 0xfffd
	v_add_co_ci_u32_e32 v17, vcc_lo, v31, v1, vcc_lo
	ds_load_b128 v[0:3], v28 offset:19712
	ds_load_b128 v[4:7], v28 offset:20608
	v_lshlrev_b64_e32 v[18:19], 4, v[8:9]
	v_lshlrev_b64_e32 v[20:21], 4, v[10:11]
	ds_load_b128 v[8:11], v28 offset:21504
	ds_load_b128 v[12:15], v28 offset:22400
	v_dual_mov_b32 v23, v33 :: v_dual_add_nc_u32 v24, 0x5b0, v32
	v_add_co_u32 v18, vcc_lo, v30, v18
	s_delay_alu instid0(VALU_DEP_2)
	v_lshlrev_b64_e32 v[22:23], 4, v[22:23]
	s_wait_alu 0xfffd
	v_add_co_ci_u32_e32 v19, vcc_lo, v31, v19, vcc_lo
	v_add_co_u32 v20, vcc_lo, v30, v20
	s_wait_alu 0xfffd
	v_add_co_ci_u32_e32 v21, vcc_lo, v31, v21, vcc_lo
	v_add_co_u32 v22, vcc_lo, v30, v22
	s_wait_alu 0xfffd
	v_add_co_ci_u32_e32 v23, vcc_lo, v31, v23, vcc_lo
	s_wait_dscnt 0x3
	global_store_b128 v[16:17], v[0:3], off
	s_wait_dscnt 0x2
	global_store_b128 v[18:19], v[4:7], off
	;; [unrolled: 2-line block ×4, first 2 shown]
	v_lshlrev_b64_e32 v[0:1], 4, v[24:25]
	v_dual_mov_b32 v9, v33 :: v_dual_add_nc_u32 v8, 0x5e8, v32
	v_dual_mov_b32 v11, v33 :: v_dual_add_nc_u32 v10, 0x620, v32
	v_add_nc_u32_e32 v22, 0x658, v32
	s_delay_alu instid0(VALU_DEP_4)
	v_add_co_u32 v16, vcc_lo, v30, v0
	s_wait_alu 0xfffd
	v_add_co_ci_u32_e32 v17, vcc_lo, v31, v1, vcc_lo
	ds_load_b128 v[0:3], v28 offset:23296
	ds_load_b128 v[4:7], v28 offset:24192
	v_lshlrev_b64_e32 v[18:19], 4, v[8:9]
	v_lshlrev_b64_e32 v[20:21], 4, v[10:11]
	ds_load_b128 v[8:11], v28 offset:25088
	ds_load_b128 v[12:15], v28 offset:25984
	v_dual_mov_b32 v23, v33 :: v_dual_add_nc_u32 v24, 0x690, v32
	v_add_co_u32 v18, vcc_lo, v30, v18
	s_delay_alu instid0(VALU_DEP_2)
	v_lshlrev_b64_e32 v[22:23], 4, v[22:23]
	s_wait_alu 0xfffd
	v_add_co_ci_u32_e32 v19, vcc_lo, v31, v19, vcc_lo
	v_add_co_u32 v20, vcc_lo, v30, v20
	s_wait_alu 0xfffd
	v_add_co_ci_u32_e32 v21, vcc_lo, v31, v21, vcc_lo
	v_add_co_u32 v22, vcc_lo, v30, v22
	s_wait_dscnt 0x3
	global_store_b128 v[16:17], v[0:3], off
	s_wait_dscnt 0x2
	global_store_b128 v[18:19], v[4:7], off
	v_dual_mov_b32 v3, v33 :: v_dual_add_nc_u32 v2, 0x6c8, v32
	s_wait_alu 0xfffd
	v_add_co_ci_u32_e32 v23, vcc_lo, v31, v23, vcc_lo
	v_lshlrev_b64_e32 v[0:1], 4, v[24:25]
	s_wait_dscnt 0x1
	global_store_b128 v[20:21], v[8:11], off
	s_wait_dscnt 0x0
	global_store_b128 v[22:23], v[12:15], off
	v_mov_b32_e32 v11, v33
	v_lshlrev_b64_e32 v[8:9], 4, v[2:3]
	v_add_nc_u32_e32 v10, 0x700, v32
	v_add_co_u32 v20, vcc_lo, v30, v0
	s_wait_alu 0xfffd
	v_add_co_ci_u32_e32 v21, vcc_lo, v31, v1, vcc_lo
	s_delay_alu instid0(VALU_DEP_4)
	v_add_co_u32 v22, vcc_lo, v30, v8
	ds_load_b128 v[0:3], v28 offset:26880
	ds_load_b128 v[4:7], v28 offset:27776
	s_wait_alu 0xfffd
	v_add_co_ci_u32_e32 v23, vcc_lo, v31, v9, vcc_lo
	v_lshlrev_b64_e32 v[26:27], 4, v[10:11]
	ds_load_b128 v[8:11], v28 offset:28672
	ds_load_b128 v[12:15], v28 offset:29568
	;; [unrolled: 1-line block ×3, first 2 shown]
	v_add_nc_u32_e32 v24, 0x738, v32
	v_add_nc_u32_e32 v32, 0x770, v32
	v_add_co_u32 v26, vcc_lo, v30, v26
	s_delay_alu instid0(VALU_DEP_3) | instskip(NEXT) | instid1(VALU_DEP_3)
	v_lshlrev_b64_e32 v[24:25], 4, v[24:25]
	v_lshlrev_b64_e32 v[28:29], 4, v[32:33]
	s_wait_alu 0xfffd
	v_add_co_ci_u32_e32 v27, vcc_lo, v31, v27, vcc_lo
	s_delay_alu instid0(VALU_DEP_3)
	v_add_co_u32 v24, vcc_lo, v30, v24
	s_wait_alu 0xfffd
	v_add_co_ci_u32_e32 v25, vcc_lo, v31, v25, vcc_lo
	v_add_co_u32 v28, vcc_lo, v30, v28
	s_wait_alu 0xfffd
	v_add_co_ci_u32_e32 v29, vcc_lo, v31, v29, vcc_lo
	s_wait_dscnt 0x4
	global_store_b128 v[20:21], v[0:3], off
	s_wait_dscnt 0x3
	global_store_b128 v[22:23], v[4:7], off
	s_wait_dscnt 0x2
	global_store_b128 v[26:27], v[8:11], off
	s_wait_dscnt 0x1
	global_store_b128 v[24:25], v[12:15], off
	s_wait_dscnt 0x0
	global_store_b128 v[28:29], v[16:19], off
.LBB0_29:
	s_nop 0
	s_sendmsg sendmsg(MSG_DEALLOC_VGPRS)
	s_endpgm
	.section	.rodata,"a",@progbits
	.p2align	6, 0x0
	.amdhsa_kernel fft_rtc_fwd_len1960_factors_4_7_2_7_5_wgs_56_tpt_56_halfLds_dp_op_CI_CI_unitstride_sbrr_C2R_dirReg
		.amdhsa_group_segment_fixed_size 0
		.amdhsa_private_segment_fixed_size 116
		.amdhsa_kernarg_size 104
		.amdhsa_user_sgpr_count 2
		.amdhsa_user_sgpr_dispatch_ptr 0
		.amdhsa_user_sgpr_queue_ptr 0
		.amdhsa_user_sgpr_kernarg_segment_ptr 1
		.amdhsa_user_sgpr_dispatch_id 0
		.amdhsa_user_sgpr_private_segment_size 0
		.amdhsa_wavefront_size32 1
		.amdhsa_uses_dynamic_stack 0
		.amdhsa_enable_private_segment 1
		.amdhsa_system_sgpr_workgroup_id_x 1
		.amdhsa_system_sgpr_workgroup_id_y 0
		.amdhsa_system_sgpr_workgroup_id_z 0
		.amdhsa_system_sgpr_workgroup_info 0
		.amdhsa_system_vgpr_workitem_id 0
		.amdhsa_next_free_vgpr 256
		.amdhsa_next_free_sgpr 39
		.amdhsa_reserve_vcc 1
		.amdhsa_float_round_mode_32 0
		.amdhsa_float_round_mode_16_64 0
		.amdhsa_float_denorm_mode_32 3
		.amdhsa_float_denorm_mode_16_64 3
		.amdhsa_fp16_overflow 0
		.amdhsa_workgroup_processor_mode 1
		.amdhsa_memory_ordered 1
		.amdhsa_forward_progress 0
		.amdhsa_round_robin_scheduling 0
		.amdhsa_exception_fp_ieee_invalid_op 0
		.amdhsa_exception_fp_denorm_src 0
		.amdhsa_exception_fp_ieee_div_zero 0
		.amdhsa_exception_fp_ieee_overflow 0
		.amdhsa_exception_fp_ieee_underflow 0
		.amdhsa_exception_fp_ieee_inexact 0
		.amdhsa_exception_int_div_zero 0
	.end_amdhsa_kernel
	.text
.Lfunc_end0:
	.size	fft_rtc_fwd_len1960_factors_4_7_2_7_5_wgs_56_tpt_56_halfLds_dp_op_CI_CI_unitstride_sbrr_C2R_dirReg, .Lfunc_end0-fft_rtc_fwd_len1960_factors_4_7_2_7_5_wgs_56_tpt_56_halfLds_dp_op_CI_CI_unitstride_sbrr_C2R_dirReg
                                        ; -- End function
	.section	.AMDGPU.csdata,"",@progbits
; Kernel info:
; codeLenInByte = 27676
; NumSgprs: 41
; NumVgprs: 256
; ScratchSize: 116
; MemoryBound: 0
; FloatMode: 240
; IeeeMode: 1
; LDSByteSize: 0 bytes/workgroup (compile time only)
; SGPRBlocks: 5
; VGPRBlocks: 31
; NumSGPRsForWavesPerEU: 41
; NumVGPRsForWavesPerEU: 256
; Occupancy: 5
; WaveLimiterHint : 1
; COMPUTE_PGM_RSRC2:SCRATCH_EN: 1
; COMPUTE_PGM_RSRC2:USER_SGPR: 2
; COMPUTE_PGM_RSRC2:TRAP_HANDLER: 0
; COMPUTE_PGM_RSRC2:TGID_X_EN: 1
; COMPUTE_PGM_RSRC2:TGID_Y_EN: 0
; COMPUTE_PGM_RSRC2:TGID_Z_EN: 0
; COMPUTE_PGM_RSRC2:TIDIG_COMP_CNT: 0
	.text
	.p2alignl 7, 3214868480
	.fill 96, 4, 3214868480
	.type	__hip_cuid_7a916ba0576983a8,@object ; @__hip_cuid_7a916ba0576983a8
	.section	.bss,"aw",@nobits
	.globl	__hip_cuid_7a916ba0576983a8
__hip_cuid_7a916ba0576983a8:
	.byte	0                               ; 0x0
	.size	__hip_cuid_7a916ba0576983a8, 1

	.ident	"AMD clang version 19.0.0git (https://github.com/RadeonOpenCompute/llvm-project roc-6.4.0 25133 c7fe45cf4b819c5991fe208aaa96edf142730f1d)"
	.section	".note.GNU-stack","",@progbits
	.addrsig
	.addrsig_sym __hip_cuid_7a916ba0576983a8
	.amdgpu_metadata
---
amdhsa.kernels:
  - .args:
      - .actual_access:  read_only
        .address_space:  global
        .offset:         0
        .size:           8
        .value_kind:     global_buffer
      - .offset:         8
        .size:           8
        .value_kind:     by_value
      - .actual_access:  read_only
        .address_space:  global
        .offset:         16
        .size:           8
        .value_kind:     global_buffer
      - .actual_access:  read_only
        .address_space:  global
        .offset:         24
        .size:           8
        .value_kind:     global_buffer
      - .actual_access:  read_only
        .address_space:  global
        .offset:         32
        .size:           8
        .value_kind:     global_buffer
      - .offset:         40
        .size:           8
        .value_kind:     by_value
      - .actual_access:  read_only
        .address_space:  global
        .offset:         48
        .size:           8
        .value_kind:     global_buffer
      - .actual_access:  read_only
        .address_space:  global
        .offset:         56
        .size:           8
        .value_kind:     global_buffer
      - .offset:         64
        .size:           4
        .value_kind:     by_value
      - .actual_access:  read_only
        .address_space:  global
        .offset:         72
        .size:           8
        .value_kind:     global_buffer
      - .actual_access:  read_only
        .address_space:  global
        .offset:         80
        .size:           8
        .value_kind:     global_buffer
      - .actual_access:  read_only
        .address_space:  global
        .offset:         88
        .size:           8
        .value_kind:     global_buffer
      - .actual_access:  write_only
        .address_space:  global
        .offset:         96
        .size:           8
        .value_kind:     global_buffer
    .group_segment_fixed_size: 0
    .kernarg_segment_align: 8
    .kernarg_segment_size: 104
    .language:       OpenCL C
    .language_version:
      - 2
      - 0
    .max_flat_workgroup_size: 56
    .name:           fft_rtc_fwd_len1960_factors_4_7_2_7_5_wgs_56_tpt_56_halfLds_dp_op_CI_CI_unitstride_sbrr_C2R_dirReg
    .private_segment_fixed_size: 116
    .sgpr_count:     41
    .sgpr_spill_count: 0
    .symbol:         fft_rtc_fwd_len1960_factors_4_7_2_7_5_wgs_56_tpt_56_halfLds_dp_op_CI_CI_unitstride_sbrr_C2R_dirReg.kd
    .uniform_work_group_size: 1
    .uses_dynamic_stack: false
    .vgpr_count:     256
    .vgpr_spill_count: 36
    .wavefront_size: 32
    .workgroup_processor_mode: 1
amdhsa.target:   amdgcn-amd-amdhsa--gfx1201
amdhsa.version:
  - 1
  - 2
...

	.end_amdgpu_metadata
